;; amdgpu-corpus repo=pytorch/pytorch kind=compiled arch=gfx1201 opt=O3
	.amdgcn_target "amdgcn-amd-amdhsa--gfx1201"
	.amdhsa_code_object_version 6
	.section	.text._ZN2at6native12_GLOBAL__N_122cdist_kernel_cuda_implIdNS1_5distsIdE1pEEEvPT_PKS6_S9_S6_lllll,"axG",@progbits,_ZN2at6native12_GLOBAL__N_122cdist_kernel_cuda_implIdNS1_5distsIdE1pEEEvPT_PKS6_S9_S6_lllll,comdat
	.globl	_ZN2at6native12_GLOBAL__N_122cdist_kernel_cuda_implIdNS1_5distsIdE1pEEEvPT_PKS6_S9_S6_lllll ; -- Begin function _ZN2at6native12_GLOBAL__N_122cdist_kernel_cuda_implIdNS1_5distsIdE1pEEEvPT_PKS6_S9_S6_lllll
	.p2align	8
	.type	_ZN2at6native12_GLOBAL__N_122cdist_kernel_cuda_implIdNS1_5distsIdE1pEEEvPT_PKS6_S9_S6_lllll,@function
_ZN2at6native12_GLOBAL__N_122cdist_kernel_cuda_implIdNS1_5distsIdE1pEEEvPT_PKS6_S9_S6_lllll: ; @_ZN2at6native12_GLOBAL__N_122cdist_kernel_cuda_implIdNS1_5distsIdE1pEEEvPT_PKS6_S9_S6_lllll
; %bb.0:
	s_load_b512 s[4:19], s[0:1], 0x0
	s_mov_b32 s21, 0
	s_mov_b32 s20, ttmp9
	s_mov_b32 s2, s21
	s_wait_kmcnt 0x0
	s_mov_b32 s3, s17
	s_delay_alu instid0(SALU_CYCLE_1)
	s_cmp_lg_u64 s[2:3], 0
	s_cbranch_scc0 .LBB0_19
; %bb.1:
	s_ashr_i32 s2, s17, 31
	s_mov_b32 s29, s21
	s_mov_b32 s3, s2
	;; [unrolled: 1-line block ×3, first 2 shown]
	s_add_nc_u64 s[22:23], s[16:17], s[2:3]
	s_delay_alu instid0(SALU_CYCLE_1) | instskip(NEXT) | instid1(SALU_CYCLE_1)
	s_xor_b64 s[22:23], s[22:23], s[2:3]
	s_cvt_f32_u32 s24, s22
	s_cvt_f32_u32 s25, s23
	s_sub_nc_u64 s[26:27], 0, s[22:23]
	s_delay_alu instid0(SALU_CYCLE_2) | instskip(NEXT) | instid1(SALU_CYCLE_3)
	s_fmamk_f32 s24, s25, 0x4f800000, s24
	v_s_rcp_f32 s24, s24
	s_delay_alu instid0(TRANS32_DEP_1) | instskip(SKIP_1) | instid1(SALU_CYCLE_2)
	s_mul_f32 s24, s24, 0x5f7ffffc
	s_wait_alu 0xfffe
	s_mul_f32 s25, s24, 0x2f800000
	s_wait_alu 0xfffe
	s_delay_alu instid0(SALU_CYCLE_2) | instskip(SKIP_1) | instid1(SALU_CYCLE_2)
	s_trunc_f32 s25, s25
	s_wait_alu 0xfffe
	s_fmamk_f32 s24, s25, 0xcf800000, s24
	s_cvt_u32_f32 s25, s25
	s_wait_alu 0xfffe
	s_delay_alu instid0(SALU_CYCLE_1) | instskip(SKIP_1) | instid1(SALU_CYCLE_2)
	s_cvt_u32_f32 s24, s24
	s_wait_alu 0xfffe
	s_mul_u64 s[30:31], s[26:27], s[24:25]
	s_delay_alu instid0(SALU_CYCLE_1)
	s_mul_hi_u32 s37, s24, s31
	s_mul_i32 s36, s24, s31
	s_mul_hi_u32 s28, s24, s30
	s_mul_i32 s34, s25, s30
	s_add_nc_u64 s[28:29], s[28:29], s[36:37]
	s_mul_hi_u32 s33, s25, s30
	s_mul_hi_u32 s38, s25, s31
	s_add_co_u32 s28, s28, s34
	s_add_co_ci_u32 s34, s29, s33
	s_mul_i32 s30, s25, s31
	s_add_co_ci_u32 s31, s38, 0
	s_delay_alu instid0(SALU_CYCLE_1) | instskip(SKIP_3) | instid1(SALU_CYCLE_1)
	s_add_nc_u64 s[28:29], s[34:35], s[30:31]
	s_mov_b32 s31, s21
	s_add_co_u32 s24, s24, s28
	s_cselect_b32 s28, -1, 0
	s_cmp_lg_u32 s28, 0
	s_add_co_ci_u32 s25, s25, s29
	s_mov_b32 s29, s21
	s_wait_alu 0xfffe
	s_mul_u64 s[26:27], s[26:27], s[24:25]
	s_delay_alu instid0(SALU_CYCLE_1)
	s_mul_hi_u32 s35, s24, s27
	s_mul_i32 s34, s24, s27
	s_mul_hi_u32 s28, s24, s26
	s_mul_i32 s33, s25, s26
	s_add_nc_u64 s[28:29], s[28:29], s[34:35]
	s_mul_hi_u32 s30, s25, s26
	s_mul_hi_u32 s36, s25, s27
	s_mul_i32 s26, s25, s27
	s_add_co_u32 s27, s28, s33
	s_add_co_ci_u32 s30, s29, s30
	s_add_co_ci_u32 s27, s36, 0
	s_add_nc_u64 s[28:29], s[20:21], 0
	s_add_nc_u64 s[26:27], s[30:31], s[26:27]
	s_delay_alu instid0(SALU_CYCLE_1)
	s_add_co_u32 s26, s24, s26
	s_cselect_b32 s24, -1, 0
	s_wait_alu 0xfffe
	s_cmp_lg_u32 s24, 0
	s_add_co_ci_u32 s33, s25, s27
	s_xor_b64 s[24:25], s[28:29], 0
	s_mov_b32 s27, s21
	s_wait_alu 0xfffe
	s_mul_hi_u32 s29, s24, s33
	s_mul_i32 s28, s24, s33
	s_mul_hi_u32 s30, s24, s26
	s_mul_hi_u32 s35, s25, s26
	s_mul_i32 s26, s25, s26
	s_add_nc_u64 s[28:29], s[30:31], s[28:29]
	s_mul_hi_u32 s34, s25, s33
	s_add_co_u32 s26, s28, s26
	s_add_co_ci_u32 s26, s29, s35
	s_mul_i32 s30, s25, s33
	s_add_co_ci_u32 s31, s34, 0
	s_delay_alu instid0(SALU_CYCLE_1) | instskip(NEXT) | instid1(SALU_CYCLE_1)
	s_add_nc_u64 s[26:27], s[26:27], s[30:31]
	s_mul_u64 s[28:29], s[22:23], s[26:27]
	s_delay_alu instid0(SALU_CYCLE_1)
	s_sub_co_u32 s24, s24, s28
	s_cselect_b32 s28, -1, 0
	s_sub_co_i32 s30, s25, s29
	s_cmp_lg_u32 s28, 0
	s_sub_co_ci_u32 s30, s30, s23
	s_wait_alu 0xfffe
	s_sub_co_u32 s31, s24, s22
	s_cselect_b32 s33, -1, 0
	s_delay_alu instid0(SALU_CYCLE_1) | instskip(SKIP_1) | instid1(SALU_CYCLE_1)
	s_cmp_lg_u32 s33, 0
	s_sub_co_ci_u32 s30, s30, 0
	s_cmp_ge_u32 s30, s23
	s_cselect_b32 s33, -1, 0
	s_cmp_ge_u32 s31, s22
	s_cselect_b32 s34, -1, 0
	s_cmp_eq_u32 s30, s23
	s_add_nc_u64 s[30:31], s[26:27], 1
	s_cselect_b32 s33, s34, s33
	s_add_nc_u64 s[34:35], s[26:27], 2
	s_cmp_lg_u32 s33, 0
	s_cselect_b32 s30, s34, s30
	s_cselect_b32 s31, s35, s31
	s_cmp_lg_u32 s28, 0
	s_sub_co_ci_u32 s25, s25, s29
	s_wait_alu 0xfffe
	s_cmp_ge_u32 s25, s23
	s_cselect_b32 s28, -1, 0
	s_cmp_ge_u32 s24, s22
	s_cselect_b32 s22, -1, 0
	s_cmp_eq_u32 s25, s23
	s_cselect_b32 s22, s22, s28
	s_delay_alu instid0(SALU_CYCLE_1) | instskip(SKIP_3) | instid1(SALU_CYCLE_1)
	s_cmp_lg_u32 s22, 0
	s_cselect_b32 s23, s31, s27
	s_cselect_b32 s22, s30, s26
	s_xor_b64 s[2:3], 0, s[2:3]
	s_xor_b64 s[22:23], s[22:23], s[2:3]
	s_delay_alu instid0(SALU_CYCLE_1) | instskip(SKIP_1) | instid1(SALU_CYCLE_1)
	s_sub_nc_u64 s[22:23], s[22:23], s[2:3]
	s_mov_b32 s2, s21
	s_and_not1_b32 vcc_lo, exec_lo, s2
	s_cbranch_vccnz .LBB0_3
.LBB0_2:
	v_cvt_f32_u32_e32 v1, s16
	s_sub_co_i32 s3, 0, s16
	s_delay_alu instid0(VALU_DEP_1) | instskip(NEXT) | instid1(TRANS32_DEP_1)
	v_rcp_iflag_f32_e32 v1, v1
	v_mul_f32_e32 v1, 0x4f7ffffe, v1
	s_delay_alu instid0(VALU_DEP_1) | instskip(NEXT) | instid1(VALU_DEP_1)
	v_cvt_u32_f32_e32 v1, v1
	v_readfirstlane_b32 s2, v1
	s_mul_i32 s3, s3, s2
	s_delay_alu instid0(SALU_CYCLE_1) | instskip(NEXT) | instid1(SALU_CYCLE_1)
	s_mul_hi_u32 s3, s2, s3
	s_add_co_i32 s2, s2, s3
	s_delay_alu instid0(SALU_CYCLE_1) | instskip(NEXT) | instid1(SALU_CYCLE_1)
	s_mul_hi_u32 s2, s20, s2
	s_mul_i32 s3, s2, s16
	s_add_co_i32 s22, s2, 1
	s_sub_co_i32 s3, s20, s3
	s_delay_alu instid0(SALU_CYCLE_1)
	s_sub_co_i32 s23, s3, s16
	s_cmp_ge_u32 s3, s16
	s_cselect_b32 s2, s22, s2
	s_cselect_b32 s3, s23, s3
	s_add_co_i32 s22, s2, 1
	s_cmp_ge_u32 s3, s16
	s_mov_b32 s23, 0
	s_cselect_b32 s22, s22, s2
.LBB0_3:
	s_delay_alu instid0(SALU_CYCLE_1) | instskip(NEXT) | instid1(SALU_CYCLE_1)
	s_mul_u64 s[2:3], s[22:23], s[16:17]
	s_sub_nc_u64 s[2:3], s[20:21], s[2:3]
	s_delay_alu instid0(SALU_CYCLE_1)
	s_or_b64 s[16:17], s[2:3], s[12:13]
	s_mov_b32 s16, 0
	s_wait_alu 0xfffe
	s_cmp_lg_u64 s[16:17], 0
	s_cbranch_scc0 .LBB0_20
; %bb.4:
	s_ashr_i32 s24, s13, 31
	s_mov_b32 s35, s16
	s_wait_alu 0xfffe
	s_mov_b32 s25, s24
	s_mov_b32 s39, s16
	s_wait_alu 0xfffe
	s_add_nc_u64 s[26:27], s[12:13], s[24:25]
	s_delay_alu instid0(SALU_CYCLE_1) | instskip(NEXT) | instid1(SALU_CYCLE_1)
	s_xor_b64 s[26:27], s[26:27], s[24:25]
	s_cvt_f32_u32 s17, s26
	s_cvt_f32_u32 s28, s27
	s_sub_nc_u64 s[30:31], 0, s[26:27]
	s_wait_alu 0xfffe
	s_delay_alu instid0(SALU_CYCLE_1) | instskip(SKIP_1) | instid1(SALU_CYCLE_2)
	s_fmamk_f32 s17, s28, 0x4f800000, s17
	s_wait_alu 0xfffe
	v_s_rcp_f32 s17, s17
	s_delay_alu instid0(TRANS32_DEP_1) | instskip(SKIP_1) | instid1(SALU_CYCLE_2)
	s_mul_f32 s17, s17, 0x5f7ffffc
	s_wait_alu 0xfffe
	s_mul_f32 s28, s17, 0x2f800000
	s_delay_alu instid0(SALU_CYCLE_3) | instskip(NEXT) | instid1(SALU_CYCLE_3)
	s_trunc_f32 s28, s28
	s_fmamk_f32 s17, s28, 0xcf800000, s17
	s_cvt_u32_f32 s29, s28
	s_wait_alu 0xfffe
	s_delay_alu instid0(SALU_CYCLE_1) | instskip(NEXT) | instid1(SALU_CYCLE_3)
	s_cvt_u32_f32 s28, s17
	s_mul_u64 s[36:37], s[30:31], s[28:29]
	s_delay_alu instid0(SALU_CYCLE_1)
	s_mul_hi_u32 s41, s28, s37
	s_mul_i32 s40, s28, s37
	s_mul_hi_u32 s34, s28, s36
	s_mul_i32 s33, s29, s36
	s_add_nc_u64 s[34:35], s[34:35], s[40:41]
	s_mul_hi_u32 s17, s29, s36
	s_mul_hi_u32 s42, s29, s37
	s_add_co_u32 s33, s34, s33
	s_wait_alu 0xfffe
	s_add_co_ci_u32 s38, s35, s17
	s_mul_i32 s36, s29, s37
	s_add_co_ci_u32 s37, s42, 0
	s_delay_alu instid0(SALU_CYCLE_1)
	s_add_nc_u64 s[34:35], s[38:39], s[36:37]
	s_mov_b32 s37, s16
	s_add_co_u32 s28, s28, s34
	s_cselect_b32 s17, -1, 0
	s_wait_alu 0xfffe
	s_cmp_lg_u32 s17, 0
	s_add_co_ci_u32 s29, s29, s35
	s_mov_b32 s35, s16
	s_mul_u64 s[30:31], s[30:31], s[28:29]
	s_delay_alu instid0(SALU_CYCLE_1)
	s_mul_hi_u32 s39, s28, s31
	s_mul_i32 s38, s28, s31
	s_mul_hi_u32 s34, s28, s30
	s_mul_i32 s33, s29, s30
	s_add_nc_u64 s[34:35], s[34:35], s[38:39]
	s_mul_hi_u32 s17, s29, s30
	s_mul_hi_u32 s40, s29, s31
	s_mul_i32 s30, s29, s31
	s_add_co_u32 s31, s34, s33
	s_wait_alu 0xfffe
	s_add_co_ci_u32 s36, s35, s17
	s_add_co_ci_u32 s31, s40, 0
	s_mov_b32 s35, s16
	s_add_nc_u64 s[30:31], s[36:37], s[30:31]
	s_delay_alu instid0(SALU_CYCLE_1) | instskip(SKIP_1) | instid1(SALU_CYCLE_1)
	s_add_co_u32 s17, s28, s30
	s_cselect_b32 s28, -1, 0
	s_cmp_lg_u32 s28, 0
	s_add_co_ci_u32 s33, s29, s31
	s_ashr_i32 s28, s3, 31
	s_delay_alu instid0(SALU_CYCLE_1) | instskip(NEXT) | instid1(SALU_CYCLE_1)
	s_mov_b32 s29, s28
	s_add_nc_u64 s[30:31], s[2:3], s[28:29]
	s_delay_alu instid0(SALU_CYCLE_1) | instskip(NEXT) | instid1(SALU_CYCLE_1)
	s_xor_b64 s[30:31], s[30:31], s[28:29]
	s_mul_hi_u32 s39, s30, s33
	s_mul_i32 s38, s30, s33
	s_wait_alu 0xfffe
	s_mul_hi_u32 s34, s30, s17
	s_mul_hi_u32 s36, s31, s17
	s_mul_i32 s17, s31, s17
	s_add_nc_u64 s[34:35], s[34:35], s[38:39]
	s_mul_hi_u32 s40, s31, s33
	s_wait_alu 0xfffe
	s_add_co_u32 s17, s34, s17
	s_add_co_ci_u32 s36, s35, s36
	s_mul_i32 s38, s31, s33
	s_add_co_ci_u32 s39, s40, 0
	s_delay_alu instid0(SALU_CYCLE_1) | instskip(NEXT) | instid1(SALU_CYCLE_1)
	s_add_nc_u64 s[34:35], s[36:37], s[38:39]
	s_mul_u64 s[36:37], s[26:27], s[34:35]
	s_delay_alu instid0(SALU_CYCLE_1)
	s_sub_co_u32 s17, s30, s36
	s_cselect_b32 s30, -1, 0
	s_sub_co_i32 s33, s31, s37
	s_cmp_lg_u32 s30, 0
	s_sub_co_ci_u32 s33, s33, s27
	s_wait_alu 0xfffe
	s_sub_co_u32 s36, s17, s26
	s_cselect_b32 s38, -1, 0
	s_delay_alu instid0(SALU_CYCLE_1) | instskip(SKIP_2) | instid1(SALU_CYCLE_1)
	s_cmp_lg_u32 s38, 0
	s_add_nc_u64 s[38:39], s[34:35], 1
	s_sub_co_ci_u32 s33, s33, 0
	s_cmp_ge_u32 s33, s27
	s_cselect_b32 s40, -1, 0
	s_cmp_ge_u32 s36, s26
	s_cselect_b32 s36, -1, 0
	s_cmp_eq_u32 s33, s27
	s_cselect_b32 s33, s36, s40
	s_add_nc_u64 s[40:41], s[34:35], 2
	s_cmp_lg_u32 s33, 0
	s_cselect_b32 s33, s40, s38
	s_cselect_b32 s36, s41, s39
	s_cmp_lg_u32 s30, 0
	s_sub_co_ci_u32 s30, s31, s37
	s_delay_alu instid0(SALU_CYCLE_1)
	s_cmp_ge_u32 s30, s27
	s_cselect_b32 s31, -1, 0
	s_cmp_ge_u32 s17, s26
	s_cselect_b32 s17, -1, 0
	s_cmp_eq_u32 s30, s27
	s_wait_alu 0xfffe
	s_cselect_b32 s17, s17, s31
	s_wait_alu 0xfffe
	s_cmp_lg_u32 s17, 0
	s_cselect_b32 s27, s36, s35
	s_cselect_b32 s26, s33, s34
	s_xor_b64 s[24:25], s[28:29], s[24:25]
	s_wait_alu 0xfffe
	s_xor_b64 s[26:27], s[26:27], s[24:25]
	s_delay_alu instid0(SALU_CYCLE_1)
	s_sub_nc_u64 s[24:25], s[26:27], s[24:25]
	s_and_not1_b32 vcc_lo, exec_lo, s16
	s_cbranch_vccnz .LBB0_6
.LBB0_5:
	v_cvt_f32_u32_e32 v1, s12
	s_sub_co_i32 s17, 0, s12
	s_delay_alu instid0(VALU_DEP_1) | instskip(NEXT) | instid1(TRANS32_DEP_1)
	v_rcp_iflag_f32_e32 v1, v1
	v_mul_f32_e32 v1, 0x4f7ffffe, v1
	s_delay_alu instid0(VALU_DEP_1) | instskip(NEXT) | instid1(VALU_DEP_1)
	v_cvt_u32_f32_e32 v1, v1
	v_readfirstlane_b32 s16, v1
	s_wait_alu 0xfffe
	s_mul_i32 s17, s17, s16
	s_wait_alu 0xfffe
	s_mul_hi_u32 s17, s16, s17
	s_wait_alu 0xfffe
	s_add_co_i32 s16, s16, s17
	s_wait_alu 0xfffe
	s_mul_hi_u32 s16, s2, s16
	s_wait_alu 0xfffe
	s_mul_i32 s17, s16, s12
	s_add_co_i32 s24, s16, 1
	s_wait_alu 0xfffe
	s_sub_co_i32 s17, s2, s17
	s_wait_alu 0xfffe
	s_sub_co_i32 s25, s17, s12
	s_cmp_ge_u32 s17, s12
	s_cselect_b32 s16, s24, s16
	s_wait_alu 0xfffe
	s_cselect_b32 s17, s25, s17
	s_add_co_i32 s24, s16, 1
	s_wait_alu 0xfffe
	s_cmp_ge_u32 s17, s12
	s_mov_b32 s25, 0
	s_cselect_b32 s24, s24, s16
.LBB0_6:
	s_load_b32 s33, s[0:1], 0x54
	v_dual_mov_b32 v1, 0 :: v_dual_mov_b32 v2, 0
	v_mov_b32_e32 v3, 0
	s_mov_b32 s70, exec_lo
	s_delay_alu instid0(VALU_DEP_2)
	v_cmpx_gt_i64_e64 s[14:15], v[0:1]
	s_cbranch_execz .LBB0_10
; %bb.7:
	s_load_b64 s[0:1], s[0:1], 0x40
	s_mul_u64 s[16:17], s[22:23], s[18:19]
	s_mul_u64 s[18:19], s[24:25], s[14:15]
	;; [unrolled: 1-line block ×3, first 2 shown]
	s_wait_alu 0xfffe
	s_lshl_b64 s[16:17], s[16:17], 3
	v_lshlrev_b32_e32 v6, 3, v0
	s_lshl_b64 s[18:19], s[18:19], 3
	s_sub_nc_u64 s[2:3], s[2:3], s[12:13]
	s_wait_alu 0xfffe
	s_add_nc_u64 s[6:7], s[6:7], s[16:17]
	s_mul_u64 s[12:13], s[2:3], s[14:15]
	s_add_nc_u64 s[2:3], s[6:7], s[18:19]
	v_dual_mov_b32 v2, 0 :: v_dual_mov_b32 v7, s11
	v_mov_b32_e32 v3, 0
	s_lshl_b64 s[26:27], s[14:15], 3
	s_wait_alu 0xfffe
	s_lshl_b64 s[12:13], s[12:13], 3
	s_wait_kmcnt 0x0
	s_and_b32 s73, s33, 0xffff
	s_add_nc_u64 s[6:7], s[2:3], s[26:27]
	s_mov_b32 s14, 0x55555555
	s_mov_b32 s16, 0x968915a9
	s_mul_u64 s[0:1], s[22:23], s[0:1]
	s_mov_b32 s18, 0x4222de17
	s_lshl_b64 s[0:1], s[0:1], 3
	s_mov_b32 s22, 0x3abe935a
	s_add_nc_u64 s[0:1], s[8:9], s[0:1]
	v_add_co_u32 v4, s8, s2, v6
	s_delay_alu instid0(VALU_DEP_1)
	v_add_co_ci_u32_e64 v5, null, s3, 0, s8
	s_wait_alu 0xfffe
	s_add_nc_u64 s[8:9], s[0:1], s[12:13]
	s_mov_b32 s12, 0x55555555
	s_mov_b32 s24, 0x47e6c9c2
	;; [unrolled: 1-line block ×24, first 2 shown]
	s_lshl_b32 s72, s73, 3
	s_mov_b32 s13, 0x3fe55555
	s_mov_b32 s15, 0xbfe55555
	;; [unrolled: 1-line block ×27, first 2 shown]
	s_lshl_b32 s73, s73, 3
.LBB0_8:                                ; =>This Inner Loop Header: Depth=1
	v_add_co_u32 v8, vcc_lo, s2, v6
	s_wait_alu 0xfffd
	v_add_co_ci_u32_e64 v9, null, s3, v1, vcc_lo
	s_wait_alu 0xfffe
	v_add_co_u32 v10, vcc_lo, s8, v6
	s_wait_alu 0xfffd
	v_add_co_ci_u32_e64 v11, null, s9, v1, vcc_lo
	global_load_b64 v[8:9], v[8:9], off
	global_load_b64 v[10:11], v[10:11], off
	s_wait_loadcnt 0x0
	v_add_f64_e64 v[8:9], v[8:9], -v[10:11]
	s_delay_alu instid0(VALU_DEP_1) | instskip(SKIP_2) | instid1(VALU_DEP_2)
	v_cmp_neq_f64_e64 vcc_lo, |v[8:9]|, 1.0
	s_wait_alu 0xfffd
	v_cndmask_b32_e32 v11, 0x3ff00000, v7, vcc_lo
	v_cndmask_b32_e64 v10, 0, s10, vcc_lo
	s_delay_alu instid0(VALU_DEP_1) | instskip(SKIP_4) | instid1(VALU_DEP_1)
	v_cmp_neq_f64_e32 vcc_lo, 0, v[10:11]
	v_cmp_neq_f64_e64 s74, v[10:11], |v[10:11]|
	s_wait_alu 0xfffd
	v_cndmask_b32_e32 v9, 0x3ff00000, v9, vcc_lo
	v_cndmask_b32_e32 v8, 0, v8, vcc_lo
	v_frexp_mant_f64_e64 v[12:13], |v[8:9]|
	s_delay_alu instid0(VALU_DEP_1) | instskip(SKIP_2) | instid1(VALU_DEP_1)
	v_cmp_gt_f64_e32 vcc_lo, s[12:13], v[12:13]
	s_wait_alu 0xfffd
	v_cndmask_b32_e64 v14, 0, 1, vcc_lo
	v_ldexp_f64 v[12:13], v[12:13], v14
	s_delay_alu instid0(VALU_DEP_1) | instskip(SKIP_1) | instid1(VALU_DEP_2)
	v_add_f64_e32 v[14:15], 1.0, v[12:13]
	v_add_f64_e32 v[20:21], -1.0, v[12:13]
	v_rcp_f64_e32 v[16:17], v[14:15]
	v_add_f64_e32 v[22:23], -1.0, v[14:15]
	s_delay_alu instid0(VALU_DEP_1) | instskip(NEXT) | instid1(TRANS32_DEP_1)
	v_add_f64_e64 v[12:13], v[12:13], -v[22:23]
	v_fma_f64 v[18:19], -v[14:15], v[16:17], 1.0
	s_delay_alu instid0(VALU_DEP_1) | instskip(NEXT) | instid1(VALU_DEP_1)
	v_fma_f64 v[16:17], v[18:19], v[16:17], v[16:17]
	v_fma_f64 v[18:19], -v[14:15], v[16:17], 1.0
	s_delay_alu instid0(VALU_DEP_1) | instskip(NEXT) | instid1(VALU_DEP_1)
	v_fma_f64 v[16:17], v[18:19], v[16:17], v[16:17]
	v_mul_f64_e32 v[18:19], v[20:21], v[16:17]
	s_delay_alu instid0(VALU_DEP_1) | instskip(NEXT) | instid1(VALU_DEP_1)
	v_mul_f64_e32 v[24:25], v[14:15], v[18:19]
	v_fma_f64 v[14:15], v[18:19], v[14:15], -v[24:25]
	s_delay_alu instid0(VALU_DEP_1) | instskip(NEXT) | instid1(VALU_DEP_1)
	v_fma_f64 v[12:13], v[18:19], v[12:13], v[14:15]
	v_add_f64_e32 v[14:15], v[24:25], v[12:13]
	s_delay_alu instid0(VALU_DEP_1) | instskip(SKIP_1) | instid1(VALU_DEP_2)
	v_add_f64_e64 v[22:23], v[20:21], -v[14:15]
	v_add_f64_e64 v[24:25], v[14:15], -v[24:25]
	;; [unrolled: 1-line block ×3, first 2 shown]
	s_delay_alu instid0(VALU_DEP_2) | instskip(NEXT) | instid1(VALU_DEP_2)
	v_add_f64_e64 v[12:13], v[24:25], -v[12:13]
	v_add_f64_e64 v[14:15], v[20:21], -v[14:15]
	s_delay_alu instid0(VALU_DEP_1) | instskip(NEXT) | instid1(VALU_DEP_1)
	v_add_f64_e32 v[12:13], v[12:13], v[14:15]
	v_add_f64_e32 v[12:13], v[22:23], v[12:13]
	s_delay_alu instid0(VALU_DEP_1) | instskip(NEXT) | instid1(VALU_DEP_1)
	v_mul_f64_e32 v[12:13], v[16:17], v[12:13]
	v_add_f64_e32 v[14:15], v[18:19], v[12:13]
	s_delay_alu instid0(VALU_DEP_1) | instskip(SKIP_1) | instid1(VALU_DEP_2)
	v_add_f64_e64 v[16:17], v[14:15], -v[18:19]
	v_mul_f64_e32 v[18:19], v[14:15], v[14:15]
	v_add_f64_e64 v[12:13], v[12:13], -v[16:17]
	s_delay_alu instid0(VALU_DEP_2) | instskip(NEXT) | instid1(VALU_DEP_2)
	v_fma_f64 v[16:17], v[14:15], v[14:15], -v[18:19]
	v_add_f64_e32 v[20:21], v[12:13], v[12:13]
	s_delay_alu instid0(VALU_DEP_1) | instskip(NEXT) | instid1(VALU_DEP_1)
	v_fma_f64 v[16:17], v[14:15], v[20:21], v[16:17]
	v_add_f64_e32 v[20:21], v[18:19], v[16:17]
	s_delay_alu instid0(VALU_DEP_1) | instskip(SKIP_2) | instid1(VALU_DEP_3)
	v_fma_f64 v[22:23], v[20:21], s[18:19], s[16:17]
	v_add_f64_e64 v[18:19], v[20:21], -v[18:19]
	v_mul_f64_e32 v[26:27], v[14:15], v[20:21]
	v_fma_f64 v[22:23], v[20:21], v[22:23], s[22:23]
	s_delay_alu instid0(VALU_DEP_3) | instskip(NEXT) | instid1(VALU_DEP_3)
	v_add_f64_e64 v[16:17], v[16:17], -v[18:19]
	v_fma_f64 v[30:31], v[20:21], v[14:15], -v[26:27]
	s_delay_alu instid0(VALU_DEP_3) | instskip(NEXT) | instid1(VALU_DEP_1)
	v_fma_f64 v[22:23], v[20:21], v[22:23], s[24:25]
	v_fma_f64 v[22:23], v[20:21], v[22:23], s[26:27]
	s_delay_alu instid0(VALU_DEP_1) | instskip(NEXT) | instid1(VALU_DEP_1)
	v_fma_f64 v[22:23], v[20:21], v[22:23], s[28:29]
	v_fma_f64 v[22:23], v[20:21], v[22:23], s[30:31]
	s_delay_alu instid0(VALU_DEP_1) | instskip(NEXT) | instid1(VALU_DEP_1)
	;; [unrolled: 3-line block ×3, first 2 shown]
	v_mul_f64_e32 v[24:25], v[20:21], v[22:23]
	v_fma_f64 v[18:19], v[20:21], v[22:23], -v[24:25]
	v_fma_f64 v[20:21], v[20:21], v[12:13], v[30:31]
	v_ldexp_f64 v[12:13], v[12:13], 1
	s_delay_alu instid0(VALU_DEP_3) | instskip(NEXT) | instid1(VALU_DEP_3)
	v_fma_f64 v[18:19], v[16:17], v[22:23], v[18:19]
	v_fma_f64 v[16:17], v[16:17], v[14:15], v[20:21]
	v_ldexp_f64 v[14:15], v[14:15], 1
	s_delay_alu instid0(VALU_DEP_3) | instskip(NEXT) | instid1(VALU_DEP_3)
	v_add_f64_e32 v[22:23], v[24:25], v[18:19]
	v_add_f64_e32 v[20:21], v[26:27], v[16:17]
	s_delay_alu instid0(VALU_DEP_2) | instskip(SKIP_1) | instid1(VALU_DEP_3)
	v_add_f64_e32 v[28:29], s[12:13], v[22:23]
	v_add_f64_e64 v[24:25], v[22:23], -v[24:25]
	v_add_f64_e64 v[26:27], v[20:21], -v[26:27]
	s_delay_alu instid0(VALU_DEP_3) | instskip(NEXT) | instid1(VALU_DEP_3)
	v_add_f64_e32 v[32:33], s[14:15], v[28:29]
	v_add_f64_e64 v[18:19], v[18:19], -v[24:25]
	s_delay_alu instid0(VALU_DEP_3) | instskip(NEXT) | instid1(VALU_DEP_3)
	v_add_f64_e64 v[16:17], v[16:17], -v[26:27]
	v_add_f64_e64 v[22:23], v[22:23], -v[32:33]
	s_delay_alu instid0(VALU_DEP_3) | instskip(NEXT) | instid1(VALU_DEP_1)
	v_add_f64_e32 v[18:19], s[46:47], v[18:19]
	v_add_f64_e32 v[18:19], v[18:19], v[22:23]
	s_delay_alu instid0(VALU_DEP_1) | instskip(NEXT) | instid1(VALU_DEP_1)
	v_add_f64_e32 v[22:23], v[28:29], v[18:19]
	v_add_f64_e64 v[24:25], v[28:29], -v[22:23]
	v_mul_f64_e32 v[28:29], v[20:21], v[22:23]
	s_delay_alu instid0(VALU_DEP_2) | instskip(NEXT) | instid1(VALU_DEP_2)
	v_add_f64_e32 v[18:19], v[18:19], v[24:25]
	v_fma_f64 v[24:25], v[20:21], v[22:23], -v[28:29]
	s_delay_alu instid0(VALU_DEP_1) | instskip(SKIP_1) | instid1(VALU_DEP_2)
	v_fma_f64 v[18:19], v[20:21], v[18:19], v[24:25]
	v_frexp_exp_i32_f64_e32 v20, v[8:9]
	v_fma_f64 v[16:17], v[16:17], v[22:23], v[18:19]
	s_delay_alu instid0(VALU_DEP_2) | instskip(NEXT) | instid1(VALU_DEP_1)
	v_subrev_co_ci_u32_e64 v20, null, 0, v20, vcc_lo
	v_cvt_f64_i32_e32 v[20:21], v20
	s_delay_alu instid0(VALU_DEP_3) | instskip(NEXT) | instid1(VALU_DEP_2)
	v_add_f64_e32 v[18:19], v[28:29], v[16:17]
	v_mul_f64_e32 v[26:27], s[38:39], v[20:21]
	s_delay_alu instid0(VALU_DEP_2) | instskip(SKIP_1) | instid1(VALU_DEP_2)
	v_add_f64_e32 v[22:23], v[14:15], v[18:19]
	v_add_f64_e64 v[24:25], v[18:19], -v[28:29]
	v_add_f64_e64 v[14:15], v[22:23], -v[14:15]
	s_delay_alu instid0(VALU_DEP_2) | instskip(SKIP_1) | instid1(VALU_DEP_3)
	v_add_f64_e64 v[16:17], v[16:17], -v[24:25]
	v_fma_f64 v[24:25], v[20:21], s[38:39], -v[26:27]
	v_add_f64_e64 v[14:15], v[18:19], -v[14:15]
	s_delay_alu instid0(VALU_DEP_3) | instskip(NEXT) | instid1(VALU_DEP_3)
	v_add_f64_e32 v[12:13], v[12:13], v[16:17]
	v_fma_f64 v[16:17], v[20:21], s[42:43], v[24:25]
	s_delay_alu instid0(VALU_DEP_2) | instskip(NEXT) | instid1(VALU_DEP_2)
	v_add_f64_e32 v[12:13], v[12:13], v[14:15]
	v_add_f64_e32 v[14:15], v[26:27], v[16:17]
	s_delay_alu instid0(VALU_DEP_2) | instskip(NEXT) | instid1(VALU_DEP_2)
	v_add_f64_e32 v[18:19], v[22:23], v[12:13]
	v_add_f64_e64 v[26:27], v[14:15], -v[26:27]
	s_delay_alu instid0(VALU_DEP_2) | instskip(SKIP_1) | instid1(VALU_DEP_3)
	v_add_f64_e32 v[20:21], v[14:15], v[18:19]
	v_add_f64_e64 v[22:23], v[18:19], -v[22:23]
	v_add_f64_e64 v[16:17], v[16:17], -v[26:27]
	s_delay_alu instid0(VALU_DEP_3) | instskip(NEXT) | instid1(VALU_DEP_3)
	v_add_f64_e64 v[24:25], v[20:21], -v[14:15]
	v_add_f64_e64 v[12:13], v[12:13], -v[22:23]
	s_delay_alu instid0(VALU_DEP_2) | instskip(SKIP_1) | instid1(VALU_DEP_3)
	v_add_f64_e64 v[28:29], v[20:21], -v[24:25]
	v_add_f64_e64 v[18:19], v[18:19], -v[24:25]
	v_add_f64_e32 v[22:23], v[16:17], v[12:13]
	s_delay_alu instid0(VALU_DEP_3) | instskip(NEXT) | instid1(VALU_DEP_1)
	v_add_f64_e64 v[14:15], v[14:15], -v[28:29]
	v_add_f64_e32 v[14:15], v[18:19], v[14:15]
	s_delay_alu instid0(VALU_DEP_3) | instskip(NEXT) | instid1(VALU_DEP_2)
	v_add_f64_e64 v[18:19], v[22:23], -v[16:17]
	v_add_f64_e32 v[14:15], v[22:23], v[14:15]
	s_delay_alu instid0(VALU_DEP_2) | instskip(SKIP_1) | instid1(VALU_DEP_3)
	v_add_f64_e64 v[22:23], v[22:23], -v[18:19]
	v_add_f64_e64 v[12:13], v[12:13], -v[18:19]
	v_add_f64_e32 v[24:25], v[20:21], v[14:15]
	s_delay_alu instid0(VALU_DEP_3) | instskip(NEXT) | instid1(VALU_DEP_2)
	v_add_f64_e64 v[16:17], v[16:17], -v[22:23]
	v_add_f64_e64 v[18:19], v[24:25], -v[20:21]
	s_delay_alu instid0(VALU_DEP_2) | instskip(NEXT) | instid1(VALU_DEP_2)
	v_add_f64_e32 v[12:13], v[12:13], v[16:17]
	v_add_f64_e64 v[14:15], v[14:15], -v[18:19]
	s_delay_alu instid0(VALU_DEP_1) | instskip(NEXT) | instid1(VALU_DEP_1)
	v_add_f64_e32 v[12:13], v[12:13], v[14:15]
	v_add_f64_e32 v[14:15], v[24:25], v[12:13]
	s_delay_alu instid0(VALU_DEP_1) | instskip(SKIP_1) | instid1(VALU_DEP_2)
	v_add_f64_e64 v[16:17], v[14:15], -v[24:25]
	v_mul_f64_e32 v[18:19], v[10:11], v[14:15]
	v_add_f64_e64 v[12:13], v[12:13], -v[16:17]
	s_delay_alu instid0(VALU_DEP_2) | instskip(SKIP_1) | instid1(VALU_DEP_2)
	v_fma_f64 v[14:15], v[10:11], v[14:15], -v[18:19]
	v_cmp_class_f64_e64 vcc_lo, v[18:19], 0x204
	v_fma_f64 v[12:13], v[10:11], v[12:13], v[14:15]
	s_delay_alu instid0(VALU_DEP_1) | instskip(SKIP_1) | instid1(VALU_DEP_1)
	v_add_f64_e32 v[14:15], v[18:19], v[12:13]
	s_wait_alu 0xfffd
	v_dual_cndmask_b32 v17, v15, v19 :: v_dual_cndmask_b32 v16, v14, v18
	v_add_f64_e64 v[14:15], v[14:15], -v[18:19]
	v_cmp_eq_f64_e64 s76, |v[8:9]|, 0
	v_cmp_class_f64_e64 s75, v[8:9], 0x204
	s_delay_alu instid0(VALU_DEP_4) | instskip(NEXT) | instid1(VALU_DEP_4)
	v_cmp_neq_f64_e64 vcc_lo, 0x7ff00000, |v[16:17]|
	v_add_f64_e64 v[12:13], v[12:13], -v[14:15]
	s_wait_alu 0xfffd
	s_delay_alu instid0(VALU_DEP_1) | instskip(SKIP_4) | instid1(VALU_DEP_4)
	v_cndmask_b32_e32 v13, 0, v13, vcc_lo
	v_mul_f64_e32 v[20:21], s[48:49], v[16:17]
	v_cmp_nlt_f64_e64 s0, 0x40900000, v[16:17]
	v_cmp_ngt_f64_e64 s1, 0xc090cc00, v[16:17]
	v_cndmask_b32_e32 v12, 0, v12, vcc_lo
	v_rndne_f64_e32 v[20:21], v[20:21]
	s_and_b32 vcc_lo, s1, s0
	s_delay_alu instid0(VALU_DEP_1) | instskip(SKIP_1) | instid1(VALU_DEP_2)
	v_fma_f64 v[22:23], v[20:21], s[40:41], v[16:17]
	v_cvt_i32_f64_e32 v26, v[20:21]
	v_fma_f64 v[22:23], v[20:21], s[44:45], v[22:23]
	s_delay_alu instid0(VALU_DEP_1) | instskip(NEXT) | instid1(VALU_DEP_1)
	v_fma_f64 v[24:25], v[22:23], s[52:53], s[50:51]
	v_fma_f64 v[24:25], v[22:23], v[24:25], s[54:55]
	s_delay_alu instid0(VALU_DEP_1) | instskip(NEXT) | instid1(VALU_DEP_1)
	v_fma_f64 v[24:25], v[22:23], v[24:25], s[56:57]
	;; [unrolled: 3-line block ×5, first 2 shown]
	v_fma_f64 v[24:25], v[22:23], v[24:25], 1.0
	s_delay_alu instid0(VALU_DEP_1) | instskip(NEXT) | instid1(VALU_DEP_1)
	v_fma_f64 v[20:21], v[22:23], v[24:25], 1.0
	v_ldexp_f64 v[18:19], v[20:21], v26
	s_delay_alu instid0(VALU_DEP_1) | instskip(SKIP_1) | instid1(VALU_DEP_2)
	v_cndmask_b32_e64 v14, 0x7ff00000, v19, s0
	v_cmp_lt_f64_e64 s0, |v[8:9]|, 1.0
	v_cndmask_b32_e64 v15, 0, v14, s1
	s_wait_alu 0xfffe
	s_delay_alu instid0(VALU_DEP_4) | instskip(SKIP_1) | instid1(VALU_DEP_2)
	v_cndmask_b32_e32 v14, 0, v18, vcc_lo
	v_cmp_gt_f64_e32 vcc_lo, 0, v[10:11]
	v_fma_f64 v[12:13], v[14:15], v[12:13], v[14:15]
	v_cmp_class_f64_e64 s1, v[14:15], 0x204
	s_xor_b32 s0, s74, s0
	s_wait_alu 0xfffe
	v_cndmask_b32_e64 v16, 0x7ff00000, 0, s0
	v_cmp_neq_f64_e64 s0, |v[8:9]|, 1.0
	s_xor_b32 s74, vcc_lo, s76
	s_or_b32 vcc_lo, s76, s75
	v_cndmask_b32_e64 v13, v13, v15, s1
	s_delay_alu instid0(VALU_DEP_1)
	v_and_b32_e32 v13, 0x7fffffff, v13
	v_cndmask_b32_e64 v15, 0x3ff00000, v16, s0
	v_cmp_class_f64_e64 s0, v[10:11], 0x204
	s_wait_alu 0xfffe
	v_cndmask_b32_e64 v16, 0x7ff00000, 0, s74
	s_wait_alu 0xf1ff
	s_delay_alu instid0(VALU_DEP_2) | instskip(SKIP_1) | instid1(VALU_DEP_1)
	v_cndmask_b32_e64 v13, v13, v15, s0
	s_or_b32 s0, vcc_lo, s0
	v_cndmask_b32_e32 v13, v13, v16, vcc_lo
	v_cmp_o_f64_e64 vcc_lo, |v[8:9]|, v[10:11]
	v_cndmask_b32_e64 v12, v12, v14, s1
	s_wait_alu 0xfffe
	s_delay_alu instid0(VALU_DEP_1)
	v_cndmask_b32_e64 v12, v12, 0, s0
	v_add_co_u32 v6, s0, v6, s72
	s_wait_alu 0xf1ff
	v_add_co_ci_u32_e64 v1, null, 0, v1, s0
	s_wait_alu 0xfffd
	v_cndmask_b32_e32 v8, 0, v12, vcc_lo
	v_cndmask_b32_e32 v9, 0x7ff80000, v13, vcc_lo
	v_add_co_u32 v4, vcc_lo, v4, s73
	s_wait_alu 0xfffd
	v_add_co_ci_u32_e64 v5, null, 0, v5, vcc_lo
	s_delay_alu instid0(VALU_DEP_3) | instskip(NEXT) | instid1(VALU_DEP_2)
	v_add_f64_e32 v[2:3], v[2:3], v[8:9]
	v_cmp_le_u64_e32 vcc_lo, s[6:7], v[4:5]
	s_or_b32 s71, vcc_lo, s71
	s_delay_alu instid0(SALU_CYCLE_1)
	s_and_not1_b32 exec_lo, exec_lo, s71
	s_cbranch_execnz .LBB0_8
; %bb.9:
	s_or_b32 exec_lo, exec_lo, s71
.LBB0_10:
	s_delay_alu instid0(SALU_CYCLE_1) | instskip(SKIP_4) | instid1(VALU_DEP_2)
	s_or_b32 exec_lo, exec_lo, s70
	v_mbcnt_lo_u32_b32 v9, -1, 0
	v_and_b32_e32 v10, 31, v0
	s_mov_b32 s0, exec_lo
	s_barrier_signal -1
	v_lshl_or_b32 v5, v9, 2, 64
	v_cmp_gt_u32_e32 vcc_lo, 24, v9
	s_barrier_wait -1
	global_inv scope:SCOPE_SE
	ds_bpermute_b32 v6, v5, v2
	ds_bpermute_b32 v7, v5, v3
	s_wait_dscnt 0x0
	v_add_f64_e32 v[1:2], v[2:3], v[6:7]
	s_wait_alu 0xfffd
	v_cndmask_b32_e64 v3, 0, 8, vcc_lo
	v_cmp_gt_u32_e32 vcc_lo, 28, v9
	s_delay_alu instid0(VALU_DEP_2)
	v_add_lshl_u32 v6, v3, v9, 2
	ds_bpermute_b32 v3, v6, v1
	ds_bpermute_b32 v4, v6, v2
	s_wait_dscnt 0x0
	v_add_f64_e32 v[1:2], v[1:2], v[3:4]
	s_wait_alu 0xfffd
	v_cndmask_b32_e64 v3, 0, 4, vcc_lo
	v_cmp_gt_u32_e32 vcc_lo, 30, v9
	s_delay_alu instid0(VALU_DEP_2)
	v_add_lshl_u32 v7, v3, v9, 2
	ds_bpermute_b32 v3, v7, v1
	ds_bpermute_b32 v4, v7, v2
	s_wait_dscnt 0x0
	v_add_f64_e32 v[1:2], v[1:2], v[3:4]
	s_wait_alu 0xfffd
	v_cndmask_b32_e64 v3, 0, 2, vcc_lo
	v_cmp_ne_u32_e32 vcc_lo, 31, v9
	s_delay_alu instid0(VALU_DEP_2)
	v_add_lshl_u32 v8, v3, v9, 2
	ds_bpermute_b32 v3, v8, v1
	ds_bpermute_b32 v4, v8, v2
	s_wait_dscnt 0x0
	v_add_f64_e32 v[1:2], v[1:2], v[3:4]
	s_wait_alu 0xfffd
	v_add_co_ci_u32_e64 v3, null, 0, v9, vcc_lo
	s_delay_alu instid0(VALU_DEP_1)
	v_lshlrev_b32_e32 v9, 2, v3
	ds_bpermute_b32 v3, v9, v1
	ds_bpermute_b32 v4, v9, v2
	v_cmpx_eq_u32_e32 0, v10
	s_cbranch_execz .LBB0_12
; %bb.11:
	s_wait_dscnt 0x0
	v_add_f64_e32 v[1:2], v[1:2], v[3:4]
	v_lshrrev_b32_e32 v3, 2, v0
	ds_store_b64 v3, v[1:2]
.LBB0_12:
	s_wait_alu 0xfffe
	s_or_b32 exec_lo, exec_lo, s0
	s_wait_kmcnt 0x0
	s_and_b32 s0, 0xffff, s33
	s_wait_dscnt 0x1
	v_mov_b32_e32 v2, 0
	s_wait_alu 0xfffe
	s_lshr_b32 s0, s0, 5
	v_mov_b32_e32 v3, 0
	s_wait_alu 0xfffe
	v_cmp_gt_u32_e32 vcc_lo, s0, v0
	s_wait_loadcnt_dscnt 0x0
	s_barrier_signal -1
	s_barrier_wait -1
	global_inv scope:SCOPE_SE
	s_and_saveexec_b32 s0, vcc_lo
; %bb.13:
	v_lshlrev_b32_e32 v1, 3, v10
	ds_load_b64 v[2:3], v1
; %bb.14:
	s_wait_alu 0xfffe
	s_or_b32 exec_lo, exec_lo, s0
	s_delay_alu instid0(SALU_CYCLE_1)
	s_mov_b32 s0, exec_lo
	v_cmpx_gt_u32_e32 32, v0
	s_cbranch_execz .LBB0_16
; %bb.15:
	s_wait_dscnt 0x0
	ds_bpermute_b32 v4, v5, v2
	ds_bpermute_b32 v5, v5, v3
	s_wait_dscnt 0x0
	v_add_f64_e32 v[1:2], v[2:3], v[4:5]
	ds_bpermute_b32 v3, v6, v1
	ds_bpermute_b32 v4, v6, v2
	s_wait_dscnt 0x0
	v_add_f64_e32 v[1:2], v[1:2], v[3:4]
	;; [unrolled: 4-line block ×5, first 2 shown]
.LBB0_16:
	s_wait_alu 0xfffe
	s_or_b32 exec_lo, exec_lo, s0
	s_delay_alu instid0(SALU_CYCLE_1)
	s_mov_b32 s0, exec_lo
	v_cmpx_eq_u32_e32 0, v0
	s_cbranch_execz .LBB0_18
; %bb.17:
	v_div_scale_f64 v[0:1], null, s[10:11], s[10:11], 1.0
	v_div_scale_f64 v[8:9], vcc_lo, 1.0, s[10:11], 1.0
	s_mov_b32 s1, 0x3fe55555
	s_mov_b32 s0, 0x55555555
	;; [unrolled: 1-line block ×6, first 2 shown]
	v_rcp_f64_e32 v[4:5], v[0:1]
	s_delay_alu instid0(TRANS32_DEP_1) | instskip(NEXT) | instid1(VALU_DEP_1)
	v_fma_f64 v[6:7], -v[0:1], v[4:5], 1.0
	v_fma_f64 v[4:5], v[4:5], v[6:7], v[4:5]
	s_delay_alu instid0(VALU_DEP_1) | instskip(NEXT) | instid1(VALU_DEP_1)
	v_fma_f64 v[6:7], -v[0:1], v[4:5], 1.0
	v_fma_f64 v[4:5], v[4:5], v[6:7], v[4:5]
	s_delay_alu instid0(VALU_DEP_1) | instskip(NEXT) | instid1(VALU_DEP_1)
	v_mul_f64_e32 v[6:7], v[8:9], v[4:5]
	v_fma_f64 v[0:1], -v[0:1], v[6:7], v[8:9]
	s_wait_alu 0xfffd
	s_delay_alu instid0(VALU_DEP_1) | instskip(SKIP_2) | instid1(VALU_DEP_2)
	v_div_fmas_f64 v[0:1], v[0:1], v[4:5], v[6:7]
	s_wait_dscnt 0x0
	v_cmp_neq_f64_e32 vcc_lo, 1.0, v[2:3]
	v_div_fixup_f64 v[0:1], v[0:1], s[10:11], 1.0
	s_wait_alu 0xfffd
	s_delay_alu instid0(VALU_DEP_1) | instskip(NEXT) | instid1(VALU_DEP_2)
	v_cndmask_b32_e32 v1, 0x3ff00000, v1, vcc_lo
	v_cndmask_b32_e32 v0, 0, v0, vcc_lo
	s_delay_alu instid0(VALU_DEP_1) | instskip(SKIP_3) | instid1(VALU_DEP_1)
	v_cmp_neq_f64_e32 vcc_lo, 0, v[0:1]
	s_wait_alu 0xfffd
	v_cndmask_b32_e32 v3, 0x3ff00000, v3, vcc_lo
	v_cndmask_b32_e32 v2, 0, v2, vcc_lo
	v_frexp_mant_f64_e64 v[4:5], |v[2:3]|
	s_wait_alu 0xfffe
	s_delay_alu instid0(VALU_DEP_1) | instskip(SKIP_2) | instid1(VALU_DEP_1)
	v_cmp_gt_f64_e32 vcc_lo, s[0:1], v[4:5]
	s_wait_alu 0xfffd
	v_cndmask_b32_e64 v6, 0, 1, vcc_lo
	v_ldexp_f64 v[4:5], v[4:5], v6
	s_delay_alu instid0(VALU_DEP_1) | instskip(SKIP_1) | instid1(VALU_DEP_2)
	v_add_f64_e32 v[6:7], 1.0, v[4:5]
	v_add_f64_e32 v[12:13], -1.0, v[4:5]
	v_rcp_f64_e32 v[8:9], v[6:7]
	v_add_f64_e32 v[14:15], -1.0, v[6:7]
	s_delay_alu instid0(VALU_DEP_1) | instskip(NEXT) | instid1(TRANS32_DEP_1)
	v_add_f64_e64 v[4:5], v[4:5], -v[14:15]
	v_fma_f64 v[10:11], -v[6:7], v[8:9], 1.0
	s_delay_alu instid0(VALU_DEP_1) | instskip(NEXT) | instid1(VALU_DEP_1)
	v_fma_f64 v[8:9], v[10:11], v[8:9], v[8:9]
	v_fma_f64 v[10:11], -v[6:7], v[8:9], 1.0
	s_delay_alu instid0(VALU_DEP_1) | instskip(NEXT) | instid1(VALU_DEP_1)
	v_fma_f64 v[8:9], v[10:11], v[8:9], v[8:9]
	v_mul_f64_e32 v[10:11], v[12:13], v[8:9]
	s_delay_alu instid0(VALU_DEP_1) | instskip(NEXT) | instid1(VALU_DEP_1)
	v_mul_f64_e32 v[16:17], v[6:7], v[10:11]
	v_fma_f64 v[6:7], v[10:11], v[6:7], -v[16:17]
	s_delay_alu instid0(VALU_DEP_1) | instskip(NEXT) | instid1(VALU_DEP_1)
	v_fma_f64 v[4:5], v[10:11], v[4:5], v[6:7]
	v_add_f64_e32 v[6:7], v[16:17], v[4:5]
	s_delay_alu instid0(VALU_DEP_1) | instskip(SKIP_1) | instid1(VALU_DEP_2)
	v_add_f64_e64 v[14:15], v[12:13], -v[6:7]
	v_add_f64_e64 v[16:17], v[6:7], -v[16:17]
	;; [unrolled: 1-line block ×3, first 2 shown]
	s_delay_alu instid0(VALU_DEP_2) | instskip(NEXT) | instid1(VALU_DEP_2)
	v_add_f64_e64 v[4:5], v[16:17], -v[4:5]
	v_add_f64_e64 v[6:7], v[12:13], -v[6:7]
	s_delay_alu instid0(VALU_DEP_1) | instskip(NEXT) | instid1(VALU_DEP_1)
	v_add_f64_e32 v[4:5], v[4:5], v[6:7]
	v_add_f64_e32 v[4:5], v[14:15], v[4:5]
	s_delay_alu instid0(VALU_DEP_1) | instskip(NEXT) | instid1(VALU_DEP_1)
	v_mul_f64_e32 v[4:5], v[8:9], v[4:5]
	v_add_f64_e32 v[6:7], v[10:11], v[4:5]
	s_delay_alu instid0(VALU_DEP_1) | instskip(SKIP_1) | instid1(VALU_DEP_2)
	v_add_f64_e64 v[8:9], v[6:7], -v[10:11]
	v_mul_f64_e32 v[10:11], v[6:7], v[6:7]
	v_add_f64_e64 v[4:5], v[4:5], -v[8:9]
	s_delay_alu instid0(VALU_DEP_2) | instskip(NEXT) | instid1(VALU_DEP_2)
	v_fma_f64 v[8:9], v[6:7], v[6:7], -v[10:11]
	v_add_f64_e32 v[12:13], v[4:5], v[4:5]
	s_delay_alu instid0(VALU_DEP_1) | instskip(NEXT) | instid1(VALU_DEP_1)
	v_fma_f64 v[8:9], v[6:7], v[12:13], v[8:9]
	v_add_f64_e32 v[12:13], v[10:11], v[8:9]
	s_delay_alu instid0(VALU_DEP_1)
	v_fma_f64 v[14:15], v[12:13], s[6:7], s[2:3]
	s_mov_b32 s2, 0x3abe935a
	s_mov_b32 s3, 0x3fbe25e4
	v_add_f64_e64 v[10:11], v[12:13], -v[10:11]
	v_mul_f64_e32 v[20:21], v[6:7], v[12:13]
	s_mov_b32 s6, 0x652b82fe
	s_mov_b32 s7, 0x3ff71547
	s_wait_alu 0xfffe
	s_delay_alu instid0(VALU_DEP_3) | instskip(SKIP_2) | instid1(VALU_DEP_3)
	v_fma_f64 v[14:15], v[12:13], v[14:15], s[2:3]
	s_mov_b32 s2, 0x47e6c9c2
	s_mov_b32 s3, 0x3fc110ef
	v_add_f64_e64 v[8:9], v[8:9], -v[10:11]
	s_wait_alu 0xfffe
	s_delay_alu instid0(VALU_DEP_2) | instskip(SKIP_3) | instid1(VALU_DEP_1)
	v_fma_f64 v[14:15], v[12:13], v[14:15], s[2:3]
	s_mov_b32 s2, 0xcfa74449
	s_mov_b32 s3, 0x3fc3b13b
	s_wait_alu 0xfffe
	v_fma_f64 v[14:15], v[12:13], v[14:15], s[2:3]
	s_mov_b32 s2, 0x71bf3c30
	s_mov_b32 s3, 0x3fc745d1
	s_wait_alu 0xfffe
	s_delay_alu instid0(VALU_DEP_1) | instskip(SKIP_3) | instid1(VALU_DEP_1)
	v_fma_f64 v[14:15], v[12:13], v[14:15], s[2:3]
	s_mov_b32 s2, 0x1c7792ce
	s_mov_b32 s3, 0x3fcc71c7
	s_wait_alu 0xfffe
	v_fma_f64 v[14:15], v[12:13], v[14:15], s[2:3]
	s_mov_b32 s2, 0x924920da
	s_mov_b32 s3, 0x3fd24924
	s_wait_alu 0xfffe
	s_delay_alu instid0(VALU_DEP_1) | instskip(SKIP_3) | instid1(VALU_DEP_1)
	v_fma_f64 v[14:15], v[12:13], v[14:15], s[2:3]
	s_mov_b32 s2, 0x9999999c
	s_mov_b32 s3, 0x3fd99999
	s_wait_alu 0xfffe
	v_fma_f64 v[14:15], v[12:13], v[14:15], s[2:3]
	s_mov_b32 s3, 0x3c7abc9e
	s_mov_b32 s2, 0x3b39803f
	s_delay_alu instid0(VALU_DEP_1) | instskip(NEXT) | instid1(VALU_DEP_1)
	v_mul_f64_e32 v[16:17], v[12:13], v[14:15]
	v_fma_f64 v[10:11], v[12:13], v[14:15], -v[16:17]
	s_delay_alu instid0(VALU_DEP_1) | instskip(NEXT) | instid1(VALU_DEP_1)
	v_fma_f64 v[10:11], v[8:9], v[14:15], v[10:11]
	v_add_f64_e32 v[14:15], v[16:17], v[10:11]
	s_delay_alu instid0(VALU_DEP_1) | instskip(SKIP_3) | instid1(VALU_DEP_2)
	v_add_f64_e32 v[18:19], s[0:1], v[14:15]
	v_add_f64_e64 v[16:17], v[14:15], -v[16:17]
	s_mov_b32 s1, 0xbfe55555
	s_wait_alu 0xfffe
	v_add_f64_e32 v[22:23], s[0:1], v[18:19]
	s_delay_alu instid0(VALU_DEP_2) | instskip(SKIP_3) | instid1(VALU_DEP_3)
	v_add_f64_e64 v[10:11], v[10:11], -v[16:17]
	v_fma_f64 v[16:17], v[12:13], v[6:7], -v[20:21]
	s_mov_b32 s0, 0xd5df274d
	s_mov_b32 s1, 0x3c8543b0
	v_add_f64_e64 v[14:15], v[14:15], -v[22:23]
	s_wait_alu 0xfffe
	s_delay_alu instid0(VALU_DEP_3) | instskip(NEXT) | instid1(VALU_DEP_3)
	v_add_f64_e32 v[10:11], s[0:1], v[10:11]
	v_fma_f64 v[12:13], v[12:13], v[4:5], v[16:17]
	s_mov_b32 s1, 0x3fe62e42
	s_mov_b32 s0, 0xfefa39ef
	v_ldexp_f64 v[4:5], v[4:5], 1
	s_delay_alu instid0(VALU_DEP_3) | instskip(NEXT) | instid1(VALU_DEP_3)
	v_add_f64_e32 v[10:11], v[10:11], v[14:15]
	v_fma_f64 v[8:9], v[8:9], v[6:7], v[12:13]
	v_ldexp_f64 v[6:7], v[6:7], 1
	s_delay_alu instid0(VALU_DEP_3) | instskip(NEXT) | instid1(VALU_DEP_3)
	v_add_f64_e32 v[12:13], v[18:19], v[10:11]
	v_add_f64_e32 v[14:15], v[20:21], v[8:9]
	s_delay_alu instid0(VALU_DEP_2) | instskip(NEXT) | instid1(VALU_DEP_2)
	v_add_f64_e64 v[16:17], v[18:19], -v[12:13]
	v_mul_f64_e32 v[18:19], v[14:15], v[12:13]
	v_add_f64_e64 v[20:21], v[14:15], -v[20:21]
	s_delay_alu instid0(VALU_DEP_3) | instskip(NEXT) | instid1(VALU_DEP_3)
	v_add_f64_e32 v[10:11], v[10:11], v[16:17]
	v_fma_f64 v[16:17], v[14:15], v[12:13], -v[18:19]
	s_delay_alu instid0(VALU_DEP_3) | instskip(NEXT) | instid1(VALU_DEP_2)
	v_add_f64_e64 v[8:9], v[8:9], -v[20:21]
	v_fma_f64 v[10:11], v[14:15], v[10:11], v[16:17]
	s_delay_alu instid0(VALU_DEP_1) | instskip(SKIP_1) | instid1(VALU_DEP_2)
	v_fma_f64 v[8:9], v[8:9], v[12:13], v[10:11]
	v_frexp_exp_i32_f64_e32 v12, v[2:3]
	v_add_f64_e32 v[10:11], v[18:19], v[8:9]
	s_delay_alu instid0(VALU_DEP_2) | instskip(NEXT) | instid1(VALU_DEP_1)
	v_subrev_co_ci_u32_e64 v12, null, 0, v12, vcc_lo
	v_cvt_f64_i32_e32 v[12:13], v12
	s_delay_alu instid0(VALU_DEP_3) | instskip(SKIP_2) | instid1(VALU_DEP_3)
	v_add_f64_e32 v[14:15], v[6:7], v[10:11]
	v_add_f64_e64 v[16:17], v[10:11], -v[18:19]
	s_wait_alu 0xfffe
	v_mul_f64_e32 v[18:19], s[0:1], v[12:13]
	s_delay_alu instid0(VALU_DEP_3) | instskip(NEXT) | instid1(VALU_DEP_3)
	v_add_f64_e64 v[6:7], v[14:15], -v[6:7]
	v_add_f64_e64 v[8:9], v[8:9], -v[16:17]
	s_delay_alu instid0(VALU_DEP_3) | instskip(SKIP_1) | instid1(VALU_DEP_3)
	v_fma_f64 v[16:17], v[12:13], s[0:1], -v[18:19]
	s_mov_b32 s1, 0xbfe62e42
	v_add_f64_e64 v[6:7], v[10:11], -v[6:7]
	s_delay_alu instid0(VALU_DEP_3) | instskip(NEXT) | instid1(VALU_DEP_3)
	v_add_f64_e32 v[4:5], v[4:5], v[8:9]
	v_fma_f64 v[8:9], v[12:13], s[2:3], v[16:17]
	s_mov_b32 s3, 0xbc7abc9e
	s_delay_alu instid0(VALU_DEP_2) | instskip(NEXT) | instid1(VALU_DEP_2)
	v_add_f64_e32 v[4:5], v[4:5], v[6:7]
	v_add_f64_e32 v[6:7], v[18:19], v[8:9]
	s_delay_alu instid0(VALU_DEP_2) | instskip(NEXT) | instid1(VALU_DEP_2)
	v_add_f64_e32 v[10:11], v[14:15], v[4:5]
	v_add_f64_e64 v[18:19], v[6:7], -v[18:19]
	s_delay_alu instid0(VALU_DEP_2) | instskip(SKIP_1) | instid1(VALU_DEP_3)
	v_add_f64_e32 v[12:13], v[6:7], v[10:11]
	v_add_f64_e64 v[14:15], v[10:11], -v[14:15]
	v_add_f64_e64 v[8:9], v[8:9], -v[18:19]
	s_delay_alu instid0(VALU_DEP_3) | instskip(NEXT) | instid1(VALU_DEP_3)
	v_add_f64_e64 v[16:17], v[12:13], -v[6:7]
	v_add_f64_e64 v[4:5], v[4:5], -v[14:15]
	s_delay_alu instid0(VALU_DEP_2) | instskip(SKIP_1) | instid1(VALU_DEP_3)
	v_add_f64_e64 v[20:21], v[12:13], -v[16:17]
	v_add_f64_e64 v[10:11], v[10:11], -v[16:17]
	v_add_f64_e32 v[14:15], v[8:9], v[4:5]
	s_delay_alu instid0(VALU_DEP_3) | instskip(NEXT) | instid1(VALU_DEP_1)
	v_add_f64_e64 v[6:7], v[6:7], -v[20:21]
	v_add_f64_e32 v[6:7], v[10:11], v[6:7]
	s_delay_alu instid0(VALU_DEP_3) | instskip(NEXT) | instid1(VALU_DEP_2)
	v_add_f64_e64 v[10:11], v[14:15], -v[8:9]
	v_add_f64_e32 v[6:7], v[14:15], v[6:7]
	s_delay_alu instid0(VALU_DEP_2) | instskip(SKIP_1) | instid1(VALU_DEP_3)
	v_add_f64_e64 v[14:15], v[14:15], -v[10:11]
	v_add_f64_e64 v[4:5], v[4:5], -v[10:11]
	v_add_f64_e32 v[16:17], v[12:13], v[6:7]
	s_delay_alu instid0(VALU_DEP_3) | instskip(NEXT) | instid1(VALU_DEP_2)
	v_add_f64_e64 v[8:9], v[8:9], -v[14:15]
	v_add_f64_e64 v[10:11], v[16:17], -v[12:13]
	s_delay_alu instid0(VALU_DEP_2) | instskip(NEXT) | instid1(VALU_DEP_2)
	v_add_f64_e32 v[4:5], v[4:5], v[8:9]
	v_add_f64_e64 v[6:7], v[6:7], -v[10:11]
	s_delay_alu instid0(VALU_DEP_1) | instskip(NEXT) | instid1(VALU_DEP_1)
	v_add_f64_e32 v[4:5], v[4:5], v[6:7]
	v_add_f64_e32 v[6:7], v[16:17], v[4:5]
	s_delay_alu instid0(VALU_DEP_1) | instskip(SKIP_1) | instid1(VALU_DEP_2)
	v_add_f64_e64 v[8:9], v[6:7], -v[16:17]
	v_mul_f64_e32 v[10:11], v[0:1], v[6:7]
	v_add_f64_e64 v[4:5], v[4:5], -v[8:9]
	s_delay_alu instid0(VALU_DEP_2) | instskip(SKIP_1) | instid1(VALU_DEP_2)
	v_fma_f64 v[6:7], v[0:1], v[6:7], -v[10:11]
	v_cmp_class_f64_e64 vcc_lo, v[10:11], 0x204
	v_fma_f64 v[4:5], v[0:1], v[4:5], v[6:7]
	s_delay_alu instid0(VALU_DEP_1) | instskip(SKIP_1) | instid1(VALU_DEP_1)
	v_add_f64_e32 v[6:7], v[10:11], v[4:5]
	s_wait_alu 0xfffd
	v_dual_cndmask_b32 v9, v7, v11 :: v_dual_cndmask_b32 v8, v6, v10
	v_add_f64_e64 v[6:7], v[6:7], -v[10:11]
	s_delay_alu instid0(VALU_DEP_2) | instskip(SKIP_1) | instid1(VALU_DEP_3)
	v_mul_f64_e32 v[12:13], s[6:7], v[8:9]
	v_cmp_neq_f64_e64 vcc_lo, 0x7ff00000, |v[8:9]|
	v_add_f64_e64 v[4:5], v[4:5], -v[6:7]
	v_trunc_f64_e32 v[6:7], v[0:1]
	s_delay_alu instid0(VALU_DEP_4) | instskip(SKIP_1) | instid1(VALU_DEP_3)
	v_rndne_f64_e32 v[12:13], v[12:13]
	s_wait_alu 0xfffd
	v_cndmask_b32_e32 v5, 0, v5, vcc_lo
	v_cmp_lt_f64_e64 s6, |v[2:3]|, 1.0
	v_cndmask_b32_e32 v4, 0, v4, vcc_lo
	s_wait_alu 0xfffe
	s_delay_alu instid0(VALU_DEP_4) | instskip(SKIP_3) | instid1(VALU_DEP_2)
	v_fma_f64 v[14:15], v[12:13], s[0:1], v[8:9]
	s_mov_b32 s0, 0xfca7ab0c
	s_mov_b32 s1, 0x3e928af3
	v_cvt_i32_f64_e32 v18, v[12:13]
	v_fma_f64 v[14:15], v[12:13], s[2:3], v[14:15]
	s_mov_b32 s2, 0x6a5dcb37
	s_mov_b32 s3, 0x3e5ade15
	s_wait_alu 0xfffe
	s_delay_alu instid0(VALU_DEP_1)
	v_fma_f64 v[16:17], v[14:15], s[2:3], s[0:1]
	s_mov_b32 s0, 0x623fde64
	s_mov_b32 s1, 0x3ec71dee
	v_cmp_neq_f64_e64 s3, v[0:1], |v[0:1]|
	v_cmp_eq_f64_e64 s2, 0, v[2:3]
	s_wait_alu 0xfffe
	s_delay_alu instid0(VALU_DEP_3)
	v_fma_f64 v[16:17], v[14:15], v[16:17], s[0:1]
	s_mov_b32 s0, 0x7c89e6b0
	s_mov_b32 s1, 0x3efa0199
	s_xor_b32 s3, s3, s6
	v_cmp_class_f64_e64 s6, v[2:3], 0x204
	s_wait_alu 0xfffe
	s_delay_alu instid0(VALU_DEP_2) | instskip(SKIP_3) | instid1(VALU_DEP_1)
	v_fma_f64 v[16:17], v[14:15], v[16:17], s[0:1]
	s_mov_b32 s0, 0x14761f6e
	s_mov_b32 s1, 0x3f2a01a0
	s_wait_alu 0xfffe
	v_fma_f64 v[16:17], v[14:15], v[16:17], s[0:1]
	s_mov_b32 s0, 0x1852b7b0
	s_mov_b32 s1, 0x3f56c16c
	s_wait_alu 0xfffe
	s_delay_alu instid0(VALU_DEP_1) | instskip(SKIP_3) | instid1(VALU_DEP_1)
	v_fma_f64 v[16:17], v[14:15], v[16:17], s[0:1]
	s_mov_b32 s0, 0x11122322
	s_mov_b32 s1, 0x3f811111
	s_wait_alu 0xfffe
	v_fma_f64 v[16:17], v[14:15], v[16:17], s[0:1]
	s_mov_b32 s0, 0x555502a1
	s_mov_b32 s1, 0x3fa55555
	s_wait_alu 0xfffe
	s_delay_alu instid0(VALU_DEP_1) | instskip(SKIP_3) | instid1(VALU_DEP_1)
	v_fma_f64 v[16:17], v[14:15], v[16:17], s[0:1]
	s_mov_b32 s0, 0x55555511
	s_mov_b32 s1, 0x3fc55555
	s_wait_alu 0xfffe
	v_fma_f64 v[16:17], v[14:15], v[16:17], s[0:1]
	s_mov_b32 s0, 11
	s_mov_b32 s1, 0x3fe00000
	s_wait_alu 0xfffe
	s_delay_alu instid0(VALU_DEP_1) | instskip(SKIP_2) | instid1(VALU_DEP_3)
	v_fma_f64 v[16:17], v[14:15], v[16:17], s[0:1]
	v_cmp_nlt_f64_e64 s0, 0x40900000, v[8:9]
	v_cmp_ngt_f64_e64 s1, 0xc090cc00, v[8:9]
	v_fma_f64 v[16:17], v[14:15], v[16:17], 1.0
	s_and_b32 vcc_lo, s1, s0
	s_delay_alu instid0(VALU_DEP_1) | instskip(NEXT) | instid1(VALU_DEP_1)
	v_fma_f64 v[12:13], v[14:15], v[16:17], 1.0
	v_ldexp_f64 v[10:11], v[12:13], v18
	v_mul_f64_e32 v[12:13], 0.5, v[0:1]
	s_delay_alu instid0(VALU_DEP_2) | instskip(NEXT) | instid1(VALU_DEP_2)
	v_cndmask_b32_e64 v11, 0x7ff00000, v11, s0
	v_trunc_f64_e32 v[8:9], v[12:13]
	s_delay_alu instid0(VALU_DEP_2) | instskip(NEXT) | instid1(VALU_DEP_2)
	v_cndmask_b32_e64 v11, 0, v11, s1
	v_cmp_neq_f64_e64 s0, v[8:9], v[12:13]
	v_cndmask_b32_e64 v8, 0x7ff00000, 0, s3
	v_cmp_neq_f64_e64 s3, |v[2:3]|, 1.0
	s_wait_alu 0xf1ff
	s_delay_alu instid0(VALU_DEP_1) | instskip(SKIP_3) | instid1(VALU_DEP_2)
	v_cndmask_b32_e64 v8, 0x3ff00000, v8, s3
	s_wait_alu 0xfffe
	v_cndmask_b32_e32 v10, 0, v10, vcc_lo
	v_cmp_eq_f64_e32 vcc_lo, v[6:7], v[0:1]
	v_fma_f64 v[4:5], v[10:11], v[4:5], v[10:11]
	v_cmp_class_f64_e64 s1, v[10:11], 0x204
	s_and_b32 s0, vcc_lo, s0
	s_wait_alu 0xfffe
	v_cndmask_b32_e64 v6, 0x3ff00000, v3, s0
	v_cndmask_b32_e64 v5, v5, v11, s1
	;; [unrolled: 1-line block ×3, first 2 shown]
	v_cmp_gt_f64_e64 s1, 0, v[0:1]
	s_delay_alu instid0(VALU_DEP_3) | instskip(NEXT) | instid1(VALU_DEP_3)
	v_bfi_b32 v5, 0x7fffffff, v5, v6
	v_cndmask_b32_e32 v7, 0, v4, vcc_lo
	s_delay_alu instid0(VALU_DEP_2) | instskip(SKIP_3) | instid1(VALU_DEP_2)
	v_cndmask_b32_e32 v6, 0x7ff80000, v5, vcc_lo
	v_cmp_gt_f64_e32 vcc_lo, 0, v[2:3]
	s_xor_b32 s1, s1, s2
	s_wait_alu 0xfffd
	v_dual_cndmask_b32 v4, v4, v7 :: v_dual_cndmask_b32 v5, v5, v6
	v_cmp_class_f64_e64 vcc_lo, v[0:1], 0x204
	s_wait_alu 0xfffe
	v_cndmask_b32_e64 v6, 0x7ff00000, 0, s1
	v_cndmask_b32_e64 v7, 0, v3, s0
	s_or_b32 s0, s2, s6
	s_delay_alu instid0(VALU_DEP_1) | instskip(SKIP_3) | instid1(VALU_DEP_1)
	v_bfi_b32 v6, 0x7fffffff, v6, v7
	s_wait_alu 0xfffd
	v_cndmask_b32_e32 v5, v5, v8, vcc_lo
	s_wait_alu 0xfffe
	v_cndmask_b32_e64 v5, v5, v6, s0
	s_or_b32 s0, s0, vcc_lo
	v_cmp_o_f64_e32 vcc_lo, v[2:3], v[0:1]
	s_wait_alu 0xfffe
	v_cndmask_b32_e64 v4, v4, 0, s0
	v_mov_b32_e32 v2, 0
	s_lshl_b64 s[0:1], s[20:21], 3
	s_wait_alu 0xfffe
	s_add_nc_u64 s[0:1], s[4:5], s[0:1]
	s_wait_alu 0xfffd
	v_cndmask_b32_e32 v0, 0, v4, vcc_lo
	v_cndmask_b32_e32 v1, 0x7ff80000, v5, vcc_lo
	global_store_b64 v2, v[0:1], s[0:1]
.LBB0_18:
	s_endpgm
.LBB0_19:
                                        ; implicit-def: $sgpr22_sgpr23
	s_branch .LBB0_2
.LBB0_20:
                                        ; implicit-def: $sgpr24_sgpr25
	s_branch .LBB0_5
	.section	.rodata,"a",@progbits
	.p2align	6, 0x0
	.amdhsa_kernel _ZN2at6native12_GLOBAL__N_122cdist_kernel_cuda_implIdNS1_5distsIdE1pEEEvPT_PKS6_S9_S6_lllll
		.amdhsa_group_segment_fixed_size 2048
		.amdhsa_private_segment_fixed_size 0
		.amdhsa_kernarg_size 328
		.amdhsa_user_sgpr_count 2
		.amdhsa_user_sgpr_dispatch_ptr 0
		.amdhsa_user_sgpr_queue_ptr 0
		.amdhsa_user_sgpr_kernarg_segment_ptr 1
		.amdhsa_user_sgpr_dispatch_id 0
		.amdhsa_user_sgpr_private_segment_size 0
		.amdhsa_wavefront_size32 1
		.amdhsa_uses_dynamic_stack 0
		.amdhsa_enable_private_segment 0
		.amdhsa_system_sgpr_workgroup_id_x 1
		.amdhsa_system_sgpr_workgroup_id_y 0
		.amdhsa_system_sgpr_workgroup_id_z 0
		.amdhsa_system_sgpr_workgroup_info 0
		.amdhsa_system_vgpr_workitem_id 0
		.amdhsa_next_free_vgpr 34
		.amdhsa_next_free_sgpr 77
		.amdhsa_reserve_vcc 1
		.amdhsa_float_round_mode_32 0
		.amdhsa_float_round_mode_16_64 0
		.amdhsa_float_denorm_mode_32 3
		.amdhsa_float_denorm_mode_16_64 3
		.amdhsa_fp16_overflow 0
		.amdhsa_workgroup_processor_mode 1
		.amdhsa_memory_ordered 1
		.amdhsa_forward_progress 1
		.amdhsa_inst_pref_size 51
		.amdhsa_round_robin_scheduling 0
		.amdhsa_exception_fp_ieee_invalid_op 0
		.amdhsa_exception_fp_denorm_src 0
		.amdhsa_exception_fp_ieee_div_zero 0
		.amdhsa_exception_fp_ieee_overflow 0
		.amdhsa_exception_fp_ieee_underflow 0
		.amdhsa_exception_fp_ieee_inexact 0
		.amdhsa_exception_int_div_zero 0
	.end_amdhsa_kernel
	.section	.text._ZN2at6native12_GLOBAL__N_122cdist_kernel_cuda_implIdNS1_5distsIdE1pEEEvPT_PKS6_S9_S6_lllll,"axG",@progbits,_ZN2at6native12_GLOBAL__N_122cdist_kernel_cuda_implIdNS1_5distsIdE1pEEEvPT_PKS6_S9_S6_lllll,comdat
.Lfunc_end0:
	.size	_ZN2at6native12_GLOBAL__N_122cdist_kernel_cuda_implIdNS1_5distsIdE1pEEEvPT_PKS6_S9_S6_lllll, .Lfunc_end0-_ZN2at6native12_GLOBAL__N_122cdist_kernel_cuda_implIdNS1_5distsIdE1pEEEvPT_PKS6_S9_S6_lllll
                                        ; -- End function
	.set _ZN2at6native12_GLOBAL__N_122cdist_kernel_cuda_implIdNS1_5distsIdE1pEEEvPT_PKS6_S9_S6_lllll.num_vgpr, 34
	.set _ZN2at6native12_GLOBAL__N_122cdist_kernel_cuda_implIdNS1_5distsIdE1pEEEvPT_PKS6_S9_S6_lllll.num_agpr, 0
	.set _ZN2at6native12_GLOBAL__N_122cdist_kernel_cuda_implIdNS1_5distsIdE1pEEEvPT_PKS6_S9_S6_lllll.numbered_sgpr, 77
	.set _ZN2at6native12_GLOBAL__N_122cdist_kernel_cuda_implIdNS1_5distsIdE1pEEEvPT_PKS6_S9_S6_lllll.num_named_barrier, 0
	.set _ZN2at6native12_GLOBAL__N_122cdist_kernel_cuda_implIdNS1_5distsIdE1pEEEvPT_PKS6_S9_S6_lllll.private_seg_size, 0
	.set _ZN2at6native12_GLOBAL__N_122cdist_kernel_cuda_implIdNS1_5distsIdE1pEEEvPT_PKS6_S9_S6_lllll.uses_vcc, 1
	.set _ZN2at6native12_GLOBAL__N_122cdist_kernel_cuda_implIdNS1_5distsIdE1pEEEvPT_PKS6_S9_S6_lllll.uses_flat_scratch, 0
	.set _ZN2at6native12_GLOBAL__N_122cdist_kernel_cuda_implIdNS1_5distsIdE1pEEEvPT_PKS6_S9_S6_lllll.has_dyn_sized_stack, 0
	.set _ZN2at6native12_GLOBAL__N_122cdist_kernel_cuda_implIdNS1_5distsIdE1pEEEvPT_PKS6_S9_S6_lllll.has_recursion, 0
	.set _ZN2at6native12_GLOBAL__N_122cdist_kernel_cuda_implIdNS1_5distsIdE1pEEEvPT_PKS6_S9_S6_lllll.has_indirect_call, 0
	.section	.AMDGPU.csdata,"",@progbits
; Kernel info:
; codeLenInByte = 6508
; TotalNumSgprs: 79
; NumVgprs: 34
; ScratchSize: 0
; MemoryBound: 0
; FloatMode: 240
; IeeeMode: 1
; LDSByteSize: 2048 bytes/workgroup (compile time only)
; SGPRBlocks: 0
; VGPRBlocks: 4
; NumSGPRsForWavesPerEU: 79
; NumVGPRsForWavesPerEU: 34
; Occupancy: 16
; WaveLimiterHint : 0
; COMPUTE_PGM_RSRC2:SCRATCH_EN: 0
; COMPUTE_PGM_RSRC2:USER_SGPR: 2
; COMPUTE_PGM_RSRC2:TRAP_HANDLER: 0
; COMPUTE_PGM_RSRC2:TGID_X_EN: 1
; COMPUTE_PGM_RSRC2:TGID_Y_EN: 0
; COMPUTE_PGM_RSRC2:TGID_Z_EN: 0
; COMPUTE_PGM_RSRC2:TIDIG_COMP_CNT: 0
	.section	.text._ZN2at6native12_GLOBAL__N_122cdist_kernel_cuda_implIdNS1_5distsIdE4zeroEEEvPT_PKS6_S9_S6_lllll,"axG",@progbits,_ZN2at6native12_GLOBAL__N_122cdist_kernel_cuda_implIdNS1_5distsIdE4zeroEEEvPT_PKS6_S9_S6_lllll,comdat
	.globl	_ZN2at6native12_GLOBAL__N_122cdist_kernel_cuda_implIdNS1_5distsIdE4zeroEEEvPT_PKS6_S9_S6_lllll ; -- Begin function _ZN2at6native12_GLOBAL__N_122cdist_kernel_cuda_implIdNS1_5distsIdE4zeroEEEvPT_PKS6_S9_S6_lllll
	.p2align	8
	.type	_ZN2at6native12_GLOBAL__N_122cdist_kernel_cuda_implIdNS1_5distsIdE4zeroEEEvPT_PKS6_S9_S6_lllll,@function
_ZN2at6native12_GLOBAL__N_122cdist_kernel_cuda_implIdNS1_5distsIdE4zeroEEEvPT_PKS6_S9_S6_lllll: ; @_ZN2at6native12_GLOBAL__N_122cdist_kernel_cuda_implIdNS1_5distsIdE4zeroEEEvPT_PKS6_S9_S6_lllll
; %bb.0:
	s_clause 0x1
	s_load_b256 s[4:11], s[0:1], 0x20
	s_load_b64 s[16:17], s[0:1], 0x40
	s_mov_b32 s3, 0
	s_mov_b32 s2, ttmp9
	s_mov_b32 s12, s3
	s_wait_kmcnt 0x0
	s_mov_b32 s13, s9
	s_delay_alu instid0(SALU_CYCLE_1)
	s_cmp_lg_u64 s[12:13], 0
	s_cbranch_scc0 .LBB1_23
; %bb.1:
	s_ashr_i32 s12, s9, 31
	s_mov_b32 s23, s3
	s_mov_b32 s13, s12
	;; [unrolled: 1-line block ×3, first 2 shown]
	s_add_nc_u64 s[14:15], s[8:9], s[12:13]
	s_delay_alu instid0(SALU_CYCLE_1) | instskip(NEXT) | instid1(SALU_CYCLE_1)
	s_xor_b64 s[14:15], s[14:15], s[12:13]
	s_cvt_f32_u32 s18, s14
	s_cvt_f32_u32 s19, s15
	s_sub_nc_u64 s[20:21], 0, s[14:15]
	s_delay_alu instid0(SALU_CYCLE_2) | instskip(NEXT) | instid1(SALU_CYCLE_3)
	s_fmamk_f32 s18, s19, 0x4f800000, s18
	v_s_rcp_f32 s18, s18
	s_delay_alu instid0(TRANS32_DEP_1) | instskip(SKIP_1) | instid1(SALU_CYCLE_2)
	s_mul_f32 s18, s18, 0x5f7ffffc
	s_wait_alu 0xfffe
	s_mul_f32 s19, s18, 0x2f800000
	s_wait_alu 0xfffe
	s_delay_alu instid0(SALU_CYCLE_2) | instskip(SKIP_1) | instid1(SALU_CYCLE_2)
	s_trunc_f32 s19, s19
	s_wait_alu 0xfffe
	s_fmamk_f32 s18, s19, 0xcf800000, s18
	s_cvt_u32_f32 s19, s19
	s_wait_alu 0xfffe
	s_delay_alu instid0(SALU_CYCLE_1) | instskip(SKIP_1) | instid1(SALU_CYCLE_2)
	s_cvt_u32_f32 s18, s18
	s_wait_alu 0xfffe
	s_mul_u64 s[24:25], s[20:21], s[18:19]
	s_delay_alu instid0(SALU_CYCLE_1)
	s_mul_hi_u32 s29, s18, s25
	s_mul_i32 s28, s18, s25
	s_mul_hi_u32 s22, s18, s24
	s_mul_i32 s30, s19, s24
	s_add_nc_u64 s[22:23], s[22:23], s[28:29]
	s_mul_hi_u32 s26, s19, s24
	s_mul_hi_u32 s31, s19, s25
	s_add_co_u32 s22, s22, s30
	s_add_co_ci_u32 s26, s23, s26
	s_mul_i32 s24, s19, s25
	s_add_co_ci_u32 s25, s31, 0
	s_delay_alu instid0(SALU_CYCLE_1) | instskip(SKIP_3) | instid1(SALU_CYCLE_1)
	s_add_nc_u64 s[22:23], s[26:27], s[24:25]
	s_mov_b32 s25, s3
	s_add_co_u32 s18, s18, s22
	s_cselect_b32 s22, -1, 0
	s_cmp_lg_u32 s22, 0
	s_add_co_ci_u32 s19, s19, s23
	s_mov_b32 s23, s3
	s_wait_alu 0xfffe
	s_mul_u64 s[20:21], s[20:21], s[18:19]
	s_delay_alu instid0(SALU_CYCLE_1)
	s_mul_hi_u32 s27, s18, s21
	s_mul_i32 s26, s18, s21
	s_mul_hi_u32 s22, s18, s20
	s_mul_i32 s28, s19, s20
	s_add_nc_u64 s[22:23], s[22:23], s[26:27]
	s_mul_hi_u32 s24, s19, s20
	s_mul_hi_u32 s29, s19, s21
	s_mul_i32 s20, s19, s21
	s_add_co_u32 s21, s22, s28
	s_add_co_ci_u32 s24, s23, s24
	s_add_co_ci_u32 s21, s29, 0
	s_add_nc_u64 s[22:23], s[2:3], 0
	s_add_nc_u64 s[20:21], s[24:25], s[20:21]
	s_delay_alu instid0(SALU_CYCLE_1)
	s_add_co_u32 s20, s18, s20
	s_cselect_b32 s18, -1, 0
	s_wait_alu 0xfffe
	s_cmp_lg_u32 s18, 0
	s_add_co_ci_u32 s26, s19, s21
	s_xor_b64 s[18:19], s[22:23], 0
	s_mov_b32 s21, s3
	s_wait_alu 0xfffe
	s_mul_hi_u32 s23, s18, s26
	s_mul_i32 s22, s18, s26
	s_mul_hi_u32 s24, s18, s20
	s_mul_hi_u32 s28, s19, s20
	s_mul_i32 s20, s19, s20
	s_add_nc_u64 s[22:23], s[24:25], s[22:23]
	s_mul_hi_u32 s27, s19, s26
	s_add_co_u32 s20, s22, s20
	s_add_co_ci_u32 s20, s23, s28
	s_mul_i32 s24, s19, s26
	s_add_co_ci_u32 s25, s27, 0
	s_delay_alu instid0(SALU_CYCLE_1) | instskip(NEXT) | instid1(SALU_CYCLE_1)
	s_add_nc_u64 s[20:21], s[20:21], s[24:25]
	s_mul_u64 s[22:23], s[14:15], s[20:21]
	s_delay_alu instid0(SALU_CYCLE_1)
	s_sub_co_u32 s18, s18, s22
	s_cselect_b32 s22, -1, 0
	s_sub_co_i32 s24, s19, s23
	s_cmp_lg_u32 s22, 0
	s_sub_co_ci_u32 s24, s24, s15
	s_wait_alu 0xfffe
	s_sub_co_u32 s25, s18, s14
	s_cselect_b32 s26, -1, 0
	s_delay_alu instid0(SALU_CYCLE_1) | instskip(SKIP_1) | instid1(SALU_CYCLE_1)
	s_cmp_lg_u32 s26, 0
	s_sub_co_ci_u32 s24, s24, 0
	s_cmp_ge_u32 s24, s15
	s_cselect_b32 s26, -1, 0
	s_cmp_ge_u32 s25, s14
	s_cselect_b32 s27, -1, 0
	s_cmp_eq_u32 s24, s15
	s_add_nc_u64 s[24:25], s[20:21], 1
	s_cselect_b32 s28, s27, s26
	s_add_nc_u64 s[26:27], s[20:21], 2
	s_cmp_lg_u32 s28, 0
	s_cselect_b32 s24, s26, s24
	s_cselect_b32 s25, s27, s25
	s_cmp_lg_u32 s22, 0
	s_sub_co_ci_u32 s19, s19, s23
	s_wait_alu 0xfffe
	s_cmp_ge_u32 s19, s15
	s_cselect_b32 s22, -1, 0
	s_cmp_ge_u32 s18, s14
	s_cselect_b32 s14, -1, 0
	s_cmp_eq_u32 s19, s15
	s_cselect_b32 s14, s14, s22
	s_delay_alu instid0(SALU_CYCLE_1) | instskip(SKIP_3) | instid1(SALU_CYCLE_1)
	s_cmp_lg_u32 s14, 0
	s_cselect_b32 s15, s25, s21
	s_cselect_b32 s14, s24, s20
	s_xor_b64 s[12:13], 0, s[12:13]
	s_xor_b64 s[14:15], s[14:15], s[12:13]
	s_delay_alu instid0(SALU_CYCLE_1) | instskip(SKIP_1) | instid1(SALU_CYCLE_1)
	s_sub_nc_u64 s[18:19], s[14:15], s[12:13]
	s_mov_b32 s12, s3
	s_and_not1_b32 vcc_lo, exec_lo, s12
	s_cbranch_vccnz .LBB1_3
.LBB1_2:
	v_cvt_f32_u32_e32 v1, s8
	s_sub_co_i32 s13, 0, s8
	s_mov_b32 s19, 0
	s_delay_alu instid0(VALU_DEP_1) | instskip(NEXT) | instid1(TRANS32_DEP_1)
	v_rcp_iflag_f32_e32 v1, v1
	v_mul_f32_e32 v1, 0x4f7ffffe, v1
	s_delay_alu instid0(VALU_DEP_1) | instskip(NEXT) | instid1(VALU_DEP_1)
	v_cvt_u32_f32_e32 v1, v1
	v_readfirstlane_b32 s12, v1
	s_mul_i32 s13, s13, s12
	s_delay_alu instid0(SALU_CYCLE_1) | instskip(NEXT) | instid1(SALU_CYCLE_1)
	s_mul_hi_u32 s13, s12, s13
	s_add_co_i32 s12, s12, s13
	s_delay_alu instid0(SALU_CYCLE_1) | instskip(NEXT) | instid1(SALU_CYCLE_1)
	s_mul_hi_u32 s12, s2, s12
	s_mul_i32 s13, s12, s8
	s_add_co_i32 s14, s12, 1
	s_sub_co_i32 s13, s2, s13
	s_delay_alu instid0(SALU_CYCLE_1)
	s_sub_co_i32 s15, s13, s8
	s_cmp_ge_u32 s13, s8
	s_cselect_b32 s12, s14, s12
	s_cselect_b32 s13, s15, s13
	s_add_co_i32 s14, s12, 1
	s_cmp_ge_u32 s13, s8
	s_cselect_b32 s18, s14, s12
.LBB1_3:
	s_wait_alu 0xfffe
	s_mul_u64 s[8:9], s[18:19], s[8:9]
	s_wait_alu 0xfffe
	s_sub_nc_u64 s[8:9], s[2:3], s[8:9]
	s_wait_alu 0xfffe
	s_or_b64 s[12:13], s[8:9], s[4:5]
	s_mov_b32 s12, 0
	s_delay_alu instid0(SALU_CYCLE_1)
	s_cmp_lg_u64 s[12:13], 0
	s_cbranch_scc0 .LBB1_24
; %bb.4:
	s_ashr_i32 s14, s5, 31
	s_mov_b32 s27, s12
	s_mov_b32 s15, s14
	;; [unrolled: 1-line block ×3, first 2 shown]
	s_add_nc_u64 s[20:21], s[4:5], s[14:15]
	s_delay_alu instid0(SALU_CYCLE_1) | instskip(NEXT) | instid1(SALU_CYCLE_1)
	s_xor_b64 s[20:21], s[20:21], s[14:15]
	s_cvt_f32_u32 s13, s20
	s_cvt_f32_u32 s22, s21
	s_sub_nc_u64 s[24:25], 0, s[20:21]
	s_delay_alu instid0(SALU_CYCLE_2) | instskip(NEXT) | instid1(SALU_CYCLE_3)
	s_fmamk_f32 s13, s22, 0x4f800000, s13
	v_s_rcp_f32 s13, s13
	s_delay_alu instid0(TRANS32_DEP_1) | instskip(SKIP_1) | instid1(SALU_CYCLE_2)
	s_mul_f32 s13, s13, 0x5f7ffffc
	s_wait_alu 0xfffe
	s_mul_f32 s22, s13, 0x2f800000
	s_delay_alu instid0(SALU_CYCLE_3) | instskip(NEXT) | instid1(SALU_CYCLE_3)
	s_trunc_f32 s22, s22
	s_fmamk_f32 s13, s22, 0xcf800000, s13
	s_cvt_u32_f32 s23, s22
	s_wait_alu 0xfffe
	s_delay_alu instid0(SALU_CYCLE_1) | instskip(NEXT) | instid1(SALU_CYCLE_3)
	s_cvt_u32_f32 s22, s13
	s_mul_u64 s[28:29], s[24:25], s[22:23]
	s_delay_alu instid0(SALU_CYCLE_1)
	s_mul_hi_u32 s35, s22, s29
	s_mul_i32 s34, s22, s29
	s_mul_hi_u32 s26, s22, s28
	s_mul_i32 s30, s23, s28
	s_add_nc_u64 s[26:27], s[26:27], s[34:35]
	s_mul_hi_u32 s13, s23, s28
	s_mul_hi_u32 s33, s23, s29
	s_add_co_u32 s26, s26, s30
	s_wait_alu 0xfffe
	s_add_co_ci_u32 s30, s27, s13
	s_mul_i32 s28, s23, s29
	s_add_co_ci_u32 s29, s33, 0
	s_delay_alu instid0(SALU_CYCLE_1)
	s_add_nc_u64 s[26:27], s[30:31], s[28:29]
	s_mov_b32 s29, s12
	s_add_co_u32 s22, s22, s26
	s_cselect_b32 s13, -1, 0
	s_wait_alu 0xfffe
	s_cmp_lg_u32 s13, 0
	s_add_co_ci_u32 s23, s23, s27
	s_mov_b32 s27, s12
	s_mul_u64 s[24:25], s[24:25], s[22:23]
	s_delay_alu instid0(SALU_CYCLE_1)
	s_mul_hi_u32 s31, s22, s25
	s_mul_i32 s30, s22, s25
	s_mul_hi_u32 s26, s22, s24
	s_mul_i32 s28, s23, s24
	s_add_nc_u64 s[26:27], s[26:27], s[30:31]
	s_mul_hi_u32 s13, s23, s24
	s_mul_hi_u32 s33, s23, s25
	s_mul_i32 s24, s23, s25
	s_add_co_u32 s25, s26, s28
	s_wait_alu 0xfffe
	s_add_co_ci_u32 s28, s27, s13
	s_add_co_ci_u32 s25, s33, 0
	s_mov_b32 s27, s12
	s_add_nc_u64 s[24:25], s[28:29], s[24:25]
	s_delay_alu instid0(SALU_CYCLE_1) | instskip(SKIP_1) | instid1(SALU_CYCLE_1)
	s_add_co_u32 s13, s22, s24
	s_cselect_b32 s22, -1, 0
	s_cmp_lg_u32 s22, 0
	s_add_co_ci_u32 s28, s23, s25
	s_ashr_i32 s22, s9, 31
	s_delay_alu instid0(SALU_CYCLE_1) | instskip(NEXT) | instid1(SALU_CYCLE_1)
	s_mov_b32 s23, s22
	s_add_nc_u64 s[24:25], s[8:9], s[22:23]
	s_delay_alu instid0(SALU_CYCLE_1) | instskip(NEXT) | instid1(SALU_CYCLE_1)
	s_xor_b64 s[24:25], s[24:25], s[22:23]
	s_mul_hi_u32 s31, s24, s28
	s_mul_i32 s30, s24, s28
	s_wait_alu 0xfffe
	s_mul_hi_u32 s26, s24, s13
	s_mul_hi_u32 s34, s25, s13
	s_mul_i32 s13, s25, s13
	s_add_nc_u64 s[26:27], s[26:27], s[30:31]
	s_mul_hi_u32 s33, s25, s28
	s_wait_alu 0xfffe
	s_add_co_u32 s13, s26, s13
	s_mul_i32 s30, s25, s28
	s_add_co_ci_u32 s28, s27, s34
	s_add_co_ci_u32 s31, s33, 0
	s_delay_alu instid0(SALU_CYCLE_1) | instskip(NEXT) | instid1(SALU_CYCLE_1)
	s_add_nc_u64 s[26:27], s[28:29], s[30:31]
	s_mul_u64 s[28:29], s[20:21], s[26:27]
	s_delay_alu instid0(SALU_CYCLE_1)
	s_sub_co_u32 s13, s24, s28
	s_cselect_b32 s24, -1, 0
	s_sub_co_i32 s28, s25, s29
	s_cmp_lg_u32 s24, 0
	s_sub_co_ci_u32 s28, s28, s21
	s_wait_alu 0xfffe
	s_sub_co_u32 s30, s13, s20
	s_cselect_b32 s31, -1, 0
	s_delay_alu instid0(SALU_CYCLE_1) | instskip(SKIP_1) | instid1(SALU_CYCLE_1)
	s_cmp_lg_u32 s31, 0
	s_sub_co_ci_u32 s28, s28, 0
	s_cmp_ge_u32 s28, s21
	s_cselect_b32 s33, -1, 0
	s_cmp_ge_u32 s30, s20
	s_add_nc_u64 s[30:31], s[26:27], 1
	s_cselect_b32 s34, -1, 0
	s_cmp_eq_u32 s28, s21
	s_cselect_b32 s28, s34, s33
	s_add_nc_u64 s[34:35], s[26:27], 2
	s_cmp_lg_u32 s28, 0
	s_cselect_b32 s28, s34, s30
	s_cselect_b32 s30, s35, s31
	s_cmp_lg_u32 s24, 0
	s_sub_co_ci_u32 s24, s25, s29
	s_delay_alu instid0(SALU_CYCLE_1)
	s_cmp_ge_u32 s24, s21
	s_cselect_b32 s25, -1, 0
	s_cmp_ge_u32 s13, s20
	s_cselect_b32 s13, -1, 0
	s_cmp_eq_u32 s24, s21
	s_wait_alu 0xfffe
	s_cselect_b32 s13, s13, s25
	s_wait_alu 0xfffe
	s_cmp_lg_u32 s13, 0
	s_cselect_b32 s21, s30, s27
	s_cselect_b32 s20, s28, s26
	s_xor_b64 s[14:15], s[22:23], s[14:15]
	s_delay_alu instid0(SALU_CYCLE_1) | instskip(NEXT) | instid1(SALU_CYCLE_1)
	s_xor_b64 s[20:21], s[20:21], s[14:15]
	s_sub_nc_u64 s[20:21], s[20:21], s[14:15]
	s_and_not1_b32 vcc_lo, exec_lo, s12
	s_cbranch_vccnz .LBB1_6
.LBB1_5:
	v_cvt_f32_u32_e32 v1, s4
	s_sub_co_i32 s13, 0, s4
	s_mov_b32 s21, 0
	s_delay_alu instid0(VALU_DEP_1) | instskip(NEXT) | instid1(TRANS32_DEP_1)
	v_rcp_iflag_f32_e32 v1, v1
	v_mul_f32_e32 v1, 0x4f7ffffe, v1
	s_delay_alu instid0(VALU_DEP_1) | instskip(NEXT) | instid1(VALU_DEP_1)
	v_cvt_u32_f32_e32 v1, v1
	v_readfirstlane_b32 s12, v1
	s_wait_alu 0xfffe
	s_mul_i32 s13, s13, s12
	s_wait_alu 0xfffe
	s_mul_hi_u32 s13, s12, s13
	s_wait_alu 0xfffe
	s_add_co_i32 s12, s12, s13
	s_wait_alu 0xfffe
	s_mul_hi_u32 s12, s8, s12
	s_wait_alu 0xfffe
	s_mul_i32 s13, s12, s4
	s_add_co_i32 s14, s12, 1
	s_wait_alu 0xfffe
	s_sub_co_i32 s13, s8, s13
	s_wait_alu 0xfffe
	s_sub_co_i32 s15, s13, s4
	s_cmp_ge_u32 s13, s4
	s_cselect_b32 s12, s14, s12
	s_cselect_b32 s13, s15, s13
	s_wait_alu 0xfffe
	s_add_co_i32 s14, s12, 1
	s_cmp_ge_u32 s13, s4
	s_cselect_b32 s20, s14, s12
.LBB1_6:
	s_clause 0x2
	s_load_b128 s[12:15], s[0:1], 0x0
	s_load_b64 s[22:23], s[0:1], 0x10
	s_load_b32 s1, s[0:1], 0x54
	v_mov_b32_e32 v5, 0
	v_dual_mov_b32 v1, 0 :: v_dual_mov_b32 v6, 0
	s_mov_b32 s24, exec_lo
	s_delay_alu instid0(VALU_DEP_1)
	v_cmpx_gt_i64_e64 s[6:7], v[0:1]
	s_cbranch_execz .LBB1_14
; %bb.7:
	s_mul_u64 s[10:11], s[18:19], s[10:11]
	s_mul_u64 s[26:27], s[20:21], s[6:7]
	s_lshl_b64 s[10:11], s[10:11], 3
	v_dual_mov_b32 v10, v1 :: v_dual_lshlrev_b32 v9, 3, v0
	s_lshl_b64 s[26:27], s[26:27], 3
	s_wait_kmcnt 0x0
	s_add_nc_u64 s[10:11], s[14:15], s[10:11]
	s_mul_u64 s[4:5], s[20:21], s[4:5]
	s_add_nc_u64 s[10:11], s[10:11], s[26:27]
	s_mul_u64 s[16:17], s[18:19], s[16:17]
	s_wait_alu 0xfffe
	s_sub_nc_u64 s[4:5], s[8:9], s[4:5]
	v_add_co_u32 v1, s0, s10, v9
	s_lshl_b64 s[8:9], s[16:17], 3
	s_wait_alu 0xfffe
	s_mul_u64 s[4:5], s[4:5], s[6:7]
	v_mov_b32_e32 v3, 0
	v_add_co_ci_u32_e64 v2, null, s11, 0, s0
	v_mov_b32_e32 v4, 0
	s_lshl_b64 s[14:15], s[6:7], 3
	s_add_nc_u64 s[6:7], s[22:23], s[8:9]
	s_wait_alu 0xfffe
	s_lshl_b64 s[4:5], s[4:5], 3
	s_and_b32 s0, s1, 0xffff
	s_add_nc_u64 s[14:15], s[10:11], s[14:15]
	s_mov_b32 s25, 0
	s_wait_alu 0xfffe
	s_add_nc_u64 s[4:5], s[6:7], s[4:5]
	s_lshl_b32 s6, s0, 3
	s_lshl_b32 s7, s0, 3
	s_branch .LBB1_10
.LBB1_8:                                ;   in Loop: Header=BB1_10 Depth=1
	s_wait_alu 0xfffe
	s_or_b32 exec_lo, exec_lo, s8
	s_delay_alu instid0(VALU_DEP_1)
	v_dual_mov_b32 v6, v4 :: v_dual_mov_b32 v5, v3
.LBB1_9:                                ;   in Loop: Header=BB1_10 Depth=1
	s_wait_alu 0xfffe
	s_or_b32 exec_lo, exec_lo, s0
	v_add_co_u32 v1, vcc_lo, v1, s7
	s_wait_alu 0xfffd
	v_add_co_ci_u32_e64 v2, null, 0, v2, vcc_lo
	v_add_co_u32 v9, s0, v9, s6
	s_wait_alu 0xf1ff
	v_add_co_ci_u32_e64 v10, null, 0, v10, s0
	s_delay_alu instid0(VALU_DEP_3) | instskip(SKIP_2) | instid1(SALU_CYCLE_1)
	v_cmp_le_u64_e32 vcc_lo, s[14:15], v[1:2]
	v_dual_mov_b32 v3, v5 :: v_dual_mov_b32 v4, v6
	s_or_b32 s25, vcc_lo, s25
	s_and_not1_b32 exec_lo, exec_lo, s25
	s_cbranch_execz .LBB1_13
.LBB1_10:                               ; =>This Inner Loop Header: Depth=1
	v_add_co_u32 v5, vcc_lo, s10, v9
	s_wait_alu 0xfffd
	v_add_co_ci_u32_e64 v6, null, s11, v10, vcc_lo
	s_wait_alu 0xfffe
	v_add_co_u32 v7, vcc_lo, s4, v9
	s_wait_alu 0xfffd
	v_add_co_ci_u32_e64 v8, null, s5, v10, vcc_lo
	global_load_b64 v[5:6], v[5:6], off
	global_load_b64 v[7:8], v[7:8], off
	s_mov_b32 s0, exec_lo
	s_wait_loadcnt 0x0
	v_add_f64_e64 v[7:8], v[5:6], -v[7:8]
	s_delay_alu instid0(VALU_DEP_1)
	v_dual_mov_b32 v5, v7 :: v_dual_and_b32 v6, 0x7fffffff, v8
	v_cmpx_o_f64_e32 v[7:8], v[7:8]
	s_cbranch_execz .LBB1_9
; %bb.11:                               ;   in Loop: Header=BB1_10 Depth=1
	s_mov_b32 s8, exec_lo
	v_cmpx_neq_f64_e32 0, v[7:8]
	s_cbranch_execz .LBB1_8
; %bb.12:                               ;   in Loop: Header=BB1_10 Depth=1
	v_add_f64_e32 v[3:4], 1.0, v[3:4]
	s_branch .LBB1_8
.LBB1_13:
	s_or_b32 exec_lo, exec_lo, s25
.LBB1_14:
	s_delay_alu instid0(SALU_CYCLE_1) | instskip(SKIP_4) | instid1(VALU_DEP_2)
	s_or_b32 exec_lo, exec_lo, s24
	v_mbcnt_lo_u32_b32 v9, -1, 0
	v_and_b32_e32 v10, 31, v0
	s_mov_b32 s0, exec_lo
	s_barrier_signal -1
	v_lshl_or_b32 v7, v9, 2, 64
	v_cmp_gt_u32_e32 vcc_lo, 24, v9
	s_barrier_wait -1
	global_inv scope:SCOPE_SE
	ds_bpermute_b32 v1, v7, v5
	ds_bpermute_b32 v2, v7, v6
	s_wait_alu 0xfffd
	v_cndmask_b32_e64 v3, 0, 8, vcc_lo
	v_cmp_gt_u32_e32 vcc_lo, 28, v9
	s_wait_dscnt 0x0
	v_add_f64_e32 v[1:2], v[5:6], v[1:2]
	s_delay_alu instid0(VALU_DEP_3)
	v_add_lshl_u32 v5, v3, v9, 2
	ds_bpermute_b32 v3, v5, v1
	ds_bpermute_b32 v4, v5, v2
	s_wait_dscnt 0x0
	v_add_f64_e32 v[1:2], v[1:2], v[3:4]
	s_wait_alu 0xfffd
	v_cndmask_b32_e64 v3, 0, 4, vcc_lo
	v_cmp_gt_u32_e32 vcc_lo, 30, v9
	s_delay_alu instid0(VALU_DEP_2)
	v_add_lshl_u32 v6, v3, v9, 2
	ds_bpermute_b32 v3, v6, v1
	ds_bpermute_b32 v4, v6, v2
	s_wait_dscnt 0x0
	v_add_f64_e32 v[1:2], v[1:2], v[3:4]
	s_wait_alu 0xfffd
	v_cndmask_b32_e64 v3, 0, 2, vcc_lo
	v_cmp_ne_u32_e32 vcc_lo, 31, v9
	s_delay_alu instid0(VALU_DEP_2)
	v_add_lshl_u32 v8, v3, v9, 2
	ds_bpermute_b32 v3, v8, v1
	ds_bpermute_b32 v4, v8, v2
	s_wait_dscnt 0x0
	v_add_f64_e32 v[1:2], v[1:2], v[3:4]
	s_wait_alu 0xfffd
	v_add_co_ci_u32_e64 v3, null, 0, v9, vcc_lo
	s_delay_alu instid0(VALU_DEP_1)
	v_lshlrev_b32_e32 v9, 2, v3
	ds_bpermute_b32 v3, v9, v1
	ds_bpermute_b32 v4, v9, v2
	v_cmpx_eq_u32_e32 0, v10
	s_cbranch_execz .LBB1_16
; %bb.15:
	s_wait_dscnt 0x0
	v_add_f64_e32 v[1:2], v[1:2], v[3:4]
	v_lshrrev_b32_e32 v3, 2, v0
	ds_store_b64 v3, v[1:2]
.LBB1_16:
	s_wait_alu 0xfffe
	s_or_b32 exec_lo, exec_lo, s0
	s_wait_kmcnt 0x0
	s_and_b32 s0, 0xffff, s1
	v_mov_b32_e32 v1, 0
	s_wait_alu 0xfffe
	s_lshr_b32 s0, s0, 5
	v_mov_b32_e32 v2, 0
	s_wait_alu 0xfffe
	v_cmp_gt_u32_e32 vcc_lo, s0, v0
	s_wait_loadcnt_dscnt 0x0
	s_barrier_signal -1
	s_barrier_wait -1
	global_inv scope:SCOPE_SE
	s_and_saveexec_b32 s0, vcc_lo
; %bb.17:
	v_lshlrev_b32_e32 v1, 3, v10
	ds_load_b64 v[1:2], v1
; %bb.18:
	s_wait_alu 0xfffe
	s_or_b32 exec_lo, exec_lo, s0
	s_delay_alu instid0(SALU_CYCLE_1)
	s_mov_b32 s0, exec_lo
	v_cmpx_gt_u32_e32 32, v0
	s_cbranch_execz .LBB1_20
; %bb.19:
	s_wait_dscnt 0x0
	ds_bpermute_b32 v3, v7, v1
	ds_bpermute_b32 v4, v7, v2
	s_wait_dscnt 0x0
	v_add_f64_e32 v[1:2], v[1:2], v[3:4]
	ds_bpermute_b32 v3, v5, v1
	ds_bpermute_b32 v4, v5, v2
	s_wait_dscnt 0x0
	v_add_f64_e32 v[1:2], v[1:2], v[3:4]
	;; [unrolled: 4-line block ×5, first 2 shown]
.LBB1_20:
	s_wait_alu 0xfffe
	s_or_b32 exec_lo, exec_lo, s0
	s_delay_alu instid0(SALU_CYCLE_1)
	s_mov_b32 s0, exec_lo
	v_cmpx_eq_u32_e32 0, v0
	s_cbranch_execz .LBB1_22
; %bb.21:
	v_mov_b32_e32 v0, 0
	s_lshl_b64 s[0:1], s[2:3], 3
	s_wait_alu 0xfffe
	s_add_nc_u64 s[0:1], s[12:13], s[0:1]
	s_wait_dscnt 0x0
	global_store_b64 v0, v[1:2], s[0:1]
.LBB1_22:
	s_endpgm
.LBB1_23:
                                        ; implicit-def: $sgpr18_sgpr19
	s_branch .LBB1_2
.LBB1_24:
                                        ; implicit-def: $sgpr20_sgpr21
	s_branch .LBB1_5
	.section	.rodata,"a",@progbits
	.p2align	6, 0x0
	.amdhsa_kernel _ZN2at6native12_GLOBAL__N_122cdist_kernel_cuda_implIdNS1_5distsIdE4zeroEEEvPT_PKS6_S9_S6_lllll
		.amdhsa_group_segment_fixed_size 2048
		.amdhsa_private_segment_fixed_size 0
		.amdhsa_kernarg_size 328
		.amdhsa_user_sgpr_count 2
		.amdhsa_user_sgpr_dispatch_ptr 0
		.amdhsa_user_sgpr_queue_ptr 0
		.amdhsa_user_sgpr_kernarg_segment_ptr 1
		.amdhsa_user_sgpr_dispatch_id 0
		.amdhsa_user_sgpr_private_segment_size 0
		.amdhsa_wavefront_size32 1
		.amdhsa_uses_dynamic_stack 0
		.amdhsa_enable_private_segment 0
		.amdhsa_system_sgpr_workgroup_id_x 1
		.amdhsa_system_sgpr_workgroup_id_y 0
		.amdhsa_system_sgpr_workgroup_id_z 0
		.amdhsa_system_sgpr_workgroup_info 0
		.amdhsa_system_vgpr_workitem_id 0
		.amdhsa_next_free_vgpr 11
		.amdhsa_next_free_sgpr 36
		.amdhsa_reserve_vcc 1
		.amdhsa_float_round_mode_32 0
		.amdhsa_float_round_mode_16_64 0
		.amdhsa_float_denorm_mode_32 3
		.amdhsa_float_denorm_mode_16_64 3
		.amdhsa_fp16_overflow 0
		.amdhsa_workgroup_processor_mode 1
		.amdhsa_memory_ordered 1
		.amdhsa_forward_progress 1
		.amdhsa_inst_pref_size 20
		.amdhsa_round_robin_scheduling 0
		.amdhsa_exception_fp_ieee_invalid_op 0
		.amdhsa_exception_fp_denorm_src 0
		.amdhsa_exception_fp_ieee_div_zero 0
		.amdhsa_exception_fp_ieee_overflow 0
		.amdhsa_exception_fp_ieee_underflow 0
		.amdhsa_exception_fp_ieee_inexact 0
		.amdhsa_exception_int_div_zero 0
	.end_amdhsa_kernel
	.section	.text._ZN2at6native12_GLOBAL__N_122cdist_kernel_cuda_implIdNS1_5distsIdE4zeroEEEvPT_PKS6_S9_S6_lllll,"axG",@progbits,_ZN2at6native12_GLOBAL__N_122cdist_kernel_cuda_implIdNS1_5distsIdE4zeroEEEvPT_PKS6_S9_S6_lllll,comdat
.Lfunc_end1:
	.size	_ZN2at6native12_GLOBAL__N_122cdist_kernel_cuda_implIdNS1_5distsIdE4zeroEEEvPT_PKS6_S9_S6_lllll, .Lfunc_end1-_ZN2at6native12_GLOBAL__N_122cdist_kernel_cuda_implIdNS1_5distsIdE4zeroEEEvPT_PKS6_S9_S6_lllll
                                        ; -- End function
	.set _ZN2at6native12_GLOBAL__N_122cdist_kernel_cuda_implIdNS1_5distsIdE4zeroEEEvPT_PKS6_S9_S6_lllll.num_vgpr, 11
	.set _ZN2at6native12_GLOBAL__N_122cdist_kernel_cuda_implIdNS1_5distsIdE4zeroEEEvPT_PKS6_S9_S6_lllll.num_agpr, 0
	.set _ZN2at6native12_GLOBAL__N_122cdist_kernel_cuda_implIdNS1_5distsIdE4zeroEEEvPT_PKS6_S9_S6_lllll.numbered_sgpr, 36
	.set _ZN2at6native12_GLOBAL__N_122cdist_kernel_cuda_implIdNS1_5distsIdE4zeroEEEvPT_PKS6_S9_S6_lllll.num_named_barrier, 0
	.set _ZN2at6native12_GLOBAL__N_122cdist_kernel_cuda_implIdNS1_5distsIdE4zeroEEEvPT_PKS6_S9_S6_lllll.private_seg_size, 0
	.set _ZN2at6native12_GLOBAL__N_122cdist_kernel_cuda_implIdNS1_5distsIdE4zeroEEEvPT_PKS6_S9_S6_lllll.uses_vcc, 1
	.set _ZN2at6native12_GLOBAL__N_122cdist_kernel_cuda_implIdNS1_5distsIdE4zeroEEEvPT_PKS6_S9_S6_lllll.uses_flat_scratch, 0
	.set _ZN2at6native12_GLOBAL__N_122cdist_kernel_cuda_implIdNS1_5distsIdE4zeroEEEvPT_PKS6_S9_S6_lllll.has_dyn_sized_stack, 0
	.set _ZN2at6native12_GLOBAL__N_122cdist_kernel_cuda_implIdNS1_5distsIdE4zeroEEEvPT_PKS6_S9_S6_lllll.has_recursion, 0
	.set _ZN2at6native12_GLOBAL__N_122cdist_kernel_cuda_implIdNS1_5distsIdE4zeroEEEvPT_PKS6_S9_S6_lllll.has_indirect_call, 0
	.section	.AMDGPU.csdata,"",@progbits
; Kernel info:
; codeLenInByte = 2448
; TotalNumSgprs: 38
; NumVgprs: 11
; ScratchSize: 0
; MemoryBound: 0
; FloatMode: 240
; IeeeMode: 1
; LDSByteSize: 2048 bytes/workgroup (compile time only)
; SGPRBlocks: 0
; VGPRBlocks: 1
; NumSGPRsForWavesPerEU: 38
; NumVGPRsForWavesPerEU: 11
; Occupancy: 16
; WaveLimiterHint : 0
; COMPUTE_PGM_RSRC2:SCRATCH_EN: 0
; COMPUTE_PGM_RSRC2:USER_SGPR: 2
; COMPUTE_PGM_RSRC2:TRAP_HANDLER: 0
; COMPUTE_PGM_RSRC2:TGID_X_EN: 1
; COMPUTE_PGM_RSRC2:TGID_Y_EN: 0
; COMPUTE_PGM_RSRC2:TGID_Z_EN: 0
; COMPUTE_PGM_RSRC2:TIDIG_COMP_CNT: 0
	.section	.text._ZN2at6native12_GLOBAL__N_122cdist_kernel_cuda_implIdNS1_5distsIdE3oneEEEvPT_PKS6_S9_S6_lllll,"axG",@progbits,_ZN2at6native12_GLOBAL__N_122cdist_kernel_cuda_implIdNS1_5distsIdE3oneEEEvPT_PKS6_S9_S6_lllll,comdat
	.globl	_ZN2at6native12_GLOBAL__N_122cdist_kernel_cuda_implIdNS1_5distsIdE3oneEEEvPT_PKS6_S9_S6_lllll ; -- Begin function _ZN2at6native12_GLOBAL__N_122cdist_kernel_cuda_implIdNS1_5distsIdE3oneEEEvPT_PKS6_S9_S6_lllll
	.p2align	8
	.type	_ZN2at6native12_GLOBAL__N_122cdist_kernel_cuda_implIdNS1_5distsIdE3oneEEEvPT_PKS6_S9_S6_lllll,@function
_ZN2at6native12_GLOBAL__N_122cdist_kernel_cuda_implIdNS1_5distsIdE3oneEEEvPT_PKS6_S9_S6_lllll: ; @_ZN2at6native12_GLOBAL__N_122cdist_kernel_cuda_implIdNS1_5distsIdE3oneEEEvPT_PKS6_S9_S6_lllll
; %bb.0:
	s_clause 0x1
	s_load_b256 s[4:11], s[0:1], 0x20
	s_load_b64 s[16:17], s[0:1], 0x40
	s_mov_b32 s3, 0
	s_mov_b32 s2, ttmp9
	s_mov_b32 s12, s3
	s_wait_kmcnt 0x0
	s_mov_b32 s13, s9
	s_delay_alu instid0(SALU_CYCLE_1)
	s_cmp_lg_u64 s[12:13], 0
	s_cbranch_scc0 .LBB2_19
; %bb.1:
	s_ashr_i32 s12, s9, 31
	s_mov_b32 s23, s3
	s_mov_b32 s13, s12
	;; [unrolled: 1-line block ×3, first 2 shown]
	s_add_nc_u64 s[14:15], s[8:9], s[12:13]
	s_delay_alu instid0(SALU_CYCLE_1) | instskip(NEXT) | instid1(SALU_CYCLE_1)
	s_xor_b64 s[14:15], s[14:15], s[12:13]
	s_cvt_f32_u32 s18, s14
	s_cvt_f32_u32 s19, s15
	s_sub_nc_u64 s[20:21], 0, s[14:15]
	s_delay_alu instid0(SALU_CYCLE_2) | instskip(NEXT) | instid1(SALU_CYCLE_3)
	s_fmamk_f32 s18, s19, 0x4f800000, s18
	v_s_rcp_f32 s18, s18
	s_delay_alu instid0(TRANS32_DEP_1) | instskip(SKIP_1) | instid1(SALU_CYCLE_2)
	s_mul_f32 s18, s18, 0x5f7ffffc
	s_wait_alu 0xfffe
	s_mul_f32 s19, s18, 0x2f800000
	s_wait_alu 0xfffe
	s_delay_alu instid0(SALU_CYCLE_2) | instskip(SKIP_1) | instid1(SALU_CYCLE_2)
	s_trunc_f32 s19, s19
	s_wait_alu 0xfffe
	s_fmamk_f32 s18, s19, 0xcf800000, s18
	s_cvt_u32_f32 s19, s19
	s_wait_alu 0xfffe
	s_delay_alu instid0(SALU_CYCLE_1) | instskip(SKIP_1) | instid1(SALU_CYCLE_2)
	s_cvt_u32_f32 s18, s18
	s_wait_alu 0xfffe
	s_mul_u64 s[24:25], s[20:21], s[18:19]
	s_delay_alu instid0(SALU_CYCLE_1)
	s_mul_hi_u32 s29, s18, s25
	s_mul_i32 s28, s18, s25
	s_mul_hi_u32 s22, s18, s24
	s_mul_i32 s30, s19, s24
	s_add_nc_u64 s[22:23], s[22:23], s[28:29]
	s_mul_hi_u32 s26, s19, s24
	s_mul_hi_u32 s31, s19, s25
	s_add_co_u32 s22, s22, s30
	s_add_co_ci_u32 s26, s23, s26
	s_mul_i32 s24, s19, s25
	s_add_co_ci_u32 s25, s31, 0
	s_delay_alu instid0(SALU_CYCLE_1) | instskip(SKIP_3) | instid1(SALU_CYCLE_1)
	s_add_nc_u64 s[22:23], s[26:27], s[24:25]
	s_mov_b32 s25, s3
	s_add_co_u32 s18, s18, s22
	s_cselect_b32 s22, -1, 0
	s_cmp_lg_u32 s22, 0
	s_add_co_ci_u32 s19, s19, s23
	s_mov_b32 s23, s3
	s_wait_alu 0xfffe
	s_mul_u64 s[20:21], s[20:21], s[18:19]
	s_delay_alu instid0(SALU_CYCLE_1)
	s_mul_hi_u32 s27, s18, s21
	s_mul_i32 s26, s18, s21
	s_mul_hi_u32 s22, s18, s20
	s_mul_i32 s28, s19, s20
	s_add_nc_u64 s[22:23], s[22:23], s[26:27]
	s_mul_hi_u32 s24, s19, s20
	s_mul_hi_u32 s29, s19, s21
	s_mul_i32 s20, s19, s21
	s_add_co_u32 s21, s22, s28
	s_add_co_ci_u32 s24, s23, s24
	s_add_co_ci_u32 s21, s29, 0
	s_add_nc_u64 s[22:23], s[2:3], 0
	s_add_nc_u64 s[20:21], s[24:25], s[20:21]
	s_delay_alu instid0(SALU_CYCLE_1)
	s_add_co_u32 s20, s18, s20
	s_cselect_b32 s18, -1, 0
	s_wait_alu 0xfffe
	s_cmp_lg_u32 s18, 0
	s_add_co_ci_u32 s26, s19, s21
	s_xor_b64 s[18:19], s[22:23], 0
	s_mov_b32 s21, s3
	s_wait_alu 0xfffe
	s_mul_hi_u32 s23, s18, s26
	s_mul_i32 s22, s18, s26
	s_mul_hi_u32 s24, s18, s20
	s_mul_hi_u32 s28, s19, s20
	s_mul_i32 s20, s19, s20
	s_add_nc_u64 s[22:23], s[24:25], s[22:23]
	s_mul_hi_u32 s27, s19, s26
	s_add_co_u32 s20, s22, s20
	s_add_co_ci_u32 s20, s23, s28
	s_mul_i32 s24, s19, s26
	s_add_co_ci_u32 s25, s27, 0
	s_delay_alu instid0(SALU_CYCLE_1) | instskip(NEXT) | instid1(SALU_CYCLE_1)
	s_add_nc_u64 s[20:21], s[20:21], s[24:25]
	s_mul_u64 s[22:23], s[14:15], s[20:21]
	s_delay_alu instid0(SALU_CYCLE_1)
	s_sub_co_u32 s18, s18, s22
	s_cselect_b32 s22, -1, 0
	s_sub_co_i32 s24, s19, s23
	s_cmp_lg_u32 s22, 0
	s_sub_co_ci_u32 s24, s24, s15
	s_wait_alu 0xfffe
	s_sub_co_u32 s25, s18, s14
	s_cselect_b32 s26, -1, 0
	s_delay_alu instid0(SALU_CYCLE_1) | instskip(SKIP_1) | instid1(SALU_CYCLE_1)
	s_cmp_lg_u32 s26, 0
	s_sub_co_ci_u32 s24, s24, 0
	s_cmp_ge_u32 s24, s15
	s_cselect_b32 s26, -1, 0
	s_cmp_ge_u32 s25, s14
	s_cselect_b32 s27, -1, 0
	s_cmp_eq_u32 s24, s15
	s_add_nc_u64 s[24:25], s[20:21], 1
	s_cselect_b32 s28, s27, s26
	s_add_nc_u64 s[26:27], s[20:21], 2
	s_cmp_lg_u32 s28, 0
	s_cselect_b32 s24, s26, s24
	s_cselect_b32 s25, s27, s25
	s_cmp_lg_u32 s22, 0
	s_sub_co_ci_u32 s19, s19, s23
	s_wait_alu 0xfffe
	s_cmp_ge_u32 s19, s15
	s_cselect_b32 s22, -1, 0
	s_cmp_ge_u32 s18, s14
	s_cselect_b32 s14, -1, 0
	s_cmp_eq_u32 s19, s15
	s_cselect_b32 s14, s14, s22
	s_delay_alu instid0(SALU_CYCLE_1) | instskip(SKIP_3) | instid1(SALU_CYCLE_1)
	s_cmp_lg_u32 s14, 0
	s_cselect_b32 s15, s25, s21
	s_cselect_b32 s14, s24, s20
	s_xor_b64 s[12:13], 0, s[12:13]
	s_xor_b64 s[14:15], s[14:15], s[12:13]
	s_delay_alu instid0(SALU_CYCLE_1) | instskip(SKIP_1) | instid1(SALU_CYCLE_1)
	s_sub_nc_u64 s[18:19], s[14:15], s[12:13]
	s_mov_b32 s12, s3
	s_and_not1_b32 vcc_lo, exec_lo, s12
	s_cbranch_vccnz .LBB2_3
.LBB2_2:
	v_cvt_f32_u32_e32 v1, s8
	s_sub_co_i32 s13, 0, s8
	s_mov_b32 s19, 0
	s_delay_alu instid0(VALU_DEP_1) | instskip(NEXT) | instid1(TRANS32_DEP_1)
	v_rcp_iflag_f32_e32 v1, v1
	v_mul_f32_e32 v1, 0x4f7ffffe, v1
	s_delay_alu instid0(VALU_DEP_1) | instskip(NEXT) | instid1(VALU_DEP_1)
	v_cvt_u32_f32_e32 v1, v1
	v_readfirstlane_b32 s12, v1
	s_mul_i32 s13, s13, s12
	s_delay_alu instid0(SALU_CYCLE_1) | instskip(NEXT) | instid1(SALU_CYCLE_1)
	s_mul_hi_u32 s13, s12, s13
	s_add_co_i32 s12, s12, s13
	s_delay_alu instid0(SALU_CYCLE_1) | instskip(NEXT) | instid1(SALU_CYCLE_1)
	s_mul_hi_u32 s12, s2, s12
	s_mul_i32 s13, s12, s8
	s_add_co_i32 s14, s12, 1
	s_sub_co_i32 s13, s2, s13
	s_delay_alu instid0(SALU_CYCLE_1)
	s_sub_co_i32 s15, s13, s8
	s_cmp_ge_u32 s13, s8
	s_cselect_b32 s12, s14, s12
	s_cselect_b32 s13, s15, s13
	s_add_co_i32 s14, s12, 1
	s_cmp_ge_u32 s13, s8
	s_cselect_b32 s18, s14, s12
.LBB2_3:
	s_wait_alu 0xfffe
	s_mul_u64 s[8:9], s[18:19], s[8:9]
	s_wait_alu 0xfffe
	s_sub_nc_u64 s[8:9], s[2:3], s[8:9]
	s_wait_alu 0xfffe
	s_or_b64 s[12:13], s[8:9], s[4:5]
	s_mov_b32 s12, 0
	s_delay_alu instid0(SALU_CYCLE_1)
	s_cmp_lg_u64 s[12:13], 0
	s_cbranch_scc0 .LBB2_20
; %bb.4:
	s_ashr_i32 s14, s5, 31
	s_mov_b32 s27, s12
	s_mov_b32 s15, s14
	;; [unrolled: 1-line block ×3, first 2 shown]
	s_add_nc_u64 s[20:21], s[4:5], s[14:15]
	s_delay_alu instid0(SALU_CYCLE_1) | instskip(NEXT) | instid1(SALU_CYCLE_1)
	s_xor_b64 s[20:21], s[20:21], s[14:15]
	s_cvt_f32_u32 s13, s20
	s_cvt_f32_u32 s22, s21
	s_sub_nc_u64 s[24:25], 0, s[20:21]
	s_delay_alu instid0(SALU_CYCLE_2) | instskip(NEXT) | instid1(SALU_CYCLE_3)
	s_fmamk_f32 s13, s22, 0x4f800000, s13
	v_s_rcp_f32 s13, s13
	s_delay_alu instid0(TRANS32_DEP_1) | instskip(SKIP_1) | instid1(SALU_CYCLE_2)
	s_mul_f32 s13, s13, 0x5f7ffffc
	s_wait_alu 0xfffe
	s_mul_f32 s22, s13, 0x2f800000
	s_delay_alu instid0(SALU_CYCLE_3) | instskip(NEXT) | instid1(SALU_CYCLE_3)
	s_trunc_f32 s22, s22
	s_fmamk_f32 s13, s22, 0xcf800000, s13
	s_cvt_u32_f32 s23, s22
	s_wait_alu 0xfffe
	s_delay_alu instid0(SALU_CYCLE_1) | instskip(NEXT) | instid1(SALU_CYCLE_3)
	s_cvt_u32_f32 s22, s13
	s_mul_u64 s[28:29], s[24:25], s[22:23]
	s_delay_alu instid0(SALU_CYCLE_1)
	s_mul_hi_u32 s35, s22, s29
	s_mul_i32 s34, s22, s29
	s_mul_hi_u32 s26, s22, s28
	s_mul_i32 s30, s23, s28
	s_add_nc_u64 s[26:27], s[26:27], s[34:35]
	s_mul_hi_u32 s13, s23, s28
	s_mul_hi_u32 s33, s23, s29
	s_add_co_u32 s26, s26, s30
	s_wait_alu 0xfffe
	s_add_co_ci_u32 s30, s27, s13
	s_mul_i32 s28, s23, s29
	s_add_co_ci_u32 s29, s33, 0
	s_delay_alu instid0(SALU_CYCLE_1)
	s_add_nc_u64 s[26:27], s[30:31], s[28:29]
	s_mov_b32 s29, s12
	s_add_co_u32 s22, s22, s26
	s_cselect_b32 s13, -1, 0
	s_wait_alu 0xfffe
	s_cmp_lg_u32 s13, 0
	s_add_co_ci_u32 s23, s23, s27
	s_mov_b32 s27, s12
	s_mul_u64 s[24:25], s[24:25], s[22:23]
	s_delay_alu instid0(SALU_CYCLE_1)
	s_mul_hi_u32 s31, s22, s25
	s_mul_i32 s30, s22, s25
	s_mul_hi_u32 s26, s22, s24
	s_mul_i32 s28, s23, s24
	s_add_nc_u64 s[26:27], s[26:27], s[30:31]
	s_mul_hi_u32 s13, s23, s24
	s_mul_hi_u32 s33, s23, s25
	s_mul_i32 s24, s23, s25
	s_add_co_u32 s25, s26, s28
	s_wait_alu 0xfffe
	s_add_co_ci_u32 s28, s27, s13
	s_add_co_ci_u32 s25, s33, 0
	s_mov_b32 s27, s12
	s_add_nc_u64 s[24:25], s[28:29], s[24:25]
	s_delay_alu instid0(SALU_CYCLE_1) | instskip(SKIP_1) | instid1(SALU_CYCLE_1)
	s_add_co_u32 s13, s22, s24
	s_cselect_b32 s22, -1, 0
	s_cmp_lg_u32 s22, 0
	s_add_co_ci_u32 s28, s23, s25
	s_ashr_i32 s22, s9, 31
	s_delay_alu instid0(SALU_CYCLE_1) | instskip(NEXT) | instid1(SALU_CYCLE_1)
	s_mov_b32 s23, s22
	s_add_nc_u64 s[24:25], s[8:9], s[22:23]
	s_delay_alu instid0(SALU_CYCLE_1) | instskip(NEXT) | instid1(SALU_CYCLE_1)
	s_xor_b64 s[24:25], s[24:25], s[22:23]
	s_mul_hi_u32 s31, s24, s28
	s_mul_i32 s30, s24, s28
	s_wait_alu 0xfffe
	s_mul_hi_u32 s26, s24, s13
	s_mul_hi_u32 s34, s25, s13
	s_mul_i32 s13, s25, s13
	s_add_nc_u64 s[26:27], s[26:27], s[30:31]
	s_mul_hi_u32 s33, s25, s28
	s_wait_alu 0xfffe
	s_add_co_u32 s13, s26, s13
	s_mul_i32 s30, s25, s28
	s_add_co_ci_u32 s28, s27, s34
	s_add_co_ci_u32 s31, s33, 0
	s_delay_alu instid0(SALU_CYCLE_1) | instskip(NEXT) | instid1(SALU_CYCLE_1)
	s_add_nc_u64 s[26:27], s[28:29], s[30:31]
	s_mul_u64 s[28:29], s[20:21], s[26:27]
	s_delay_alu instid0(SALU_CYCLE_1)
	s_sub_co_u32 s13, s24, s28
	s_cselect_b32 s24, -1, 0
	s_sub_co_i32 s28, s25, s29
	s_cmp_lg_u32 s24, 0
	s_sub_co_ci_u32 s28, s28, s21
	s_wait_alu 0xfffe
	s_sub_co_u32 s30, s13, s20
	s_cselect_b32 s31, -1, 0
	s_delay_alu instid0(SALU_CYCLE_1) | instskip(SKIP_1) | instid1(SALU_CYCLE_1)
	s_cmp_lg_u32 s31, 0
	s_sub_co_ci_u32 s28, s28, 0
	s_cmp_ge_u32 s28, s21
	s_cselect_b32 s33, -1, 0
	s_cmp_ge_u32 s30, s20
	s_add_nc_u64 s[30:31], s[26:27], 1
	s_cselect_b32 s34, -1, 0
	s_cmp_eq_u32 s28, s21
	s_cselect_b32 s28, s34, s33
	s_add_nc_u64 s[34:35], s[26:27], 2
	s_cmp_lg_u32 s28, 0
	s_cselect_b32 s28, s34, s30
	s_cselect_b32 s30, s35, s31
	s_cmp_lg_u32 s24, 0
	s_sub_co_ci_u32 s24, s25, s29
	s_delay_alu instid0(SALU_CYCLE_1)
	s_cmp_ge_u32 s24, s21
	s_cselect_b32 s25, -1, 0
	s_cmp_ge_u32 s13, s20
	s_cselect_b32 s13, -1, 0
	s_cmp_eq_u32 s24, s21
	s_wait_alu 0xfffe
	s_cselect_b32 s13, s13, s25
	s_wait_alu 0xfffe
	s_cmp_lg_u32 s13, 0
	s_cselect_b32 s21, s30, s27
	s_cselect_b32 s20, s28, s26
	s_xor_b64 s[14:15], s[22:23], s[14:15]
	s_delay_alu instid0(SALU_CYCLE_1) | instskip(NEXT) | instid1(SALU_CYCLE_1)
	s_xor_b64 s[20:21], s[20:21], s[14:15]
	s_sub_nc_u64 s[20:21], s[20:21], s[14:15]
	s_and_not1_b32 vcc_lo, exec_lo, s12
	s_cbranch_vccnz .LBB2_6
.LBB2_5:
	v_cvt_f32_u32_e32 v1, s4
	s_sub_co_i32 s13, 0, s4
	s_mov_b32 s21, 0
	s_delay_alu instid0(VALU_DEP_1) | instskip(NEXT) | instid1(TRANS32_DEP_1)
	v_rcp_iflag_f32_e32 v1, v1
	v_mul_f32_e32 v1, 0x4f7ffffe, v1
	s_delay_alu instid0(VALU_DEP_1) | instskip(NEXT) | instid1(VALU_DEP_1)
	v_cvt_u32_f32_e32 v1, v1
	v_readfirstlane_b32 s12, v1
	s_wait_alu 0xfffe
	s_mul_i32 s13, s13, s12
	s_wait_alu 0xfffe
	s_mul_hi_u32 s13, s12, s13
	s_wait_alu 0xfffe
	s_add_co_i32 s12, s12, s13
	s_wait_alu 0xfffe
	s_mul_hi_u32 s12, s8, s12
	s_wait_alu 0xfffe
	s_mul_i32 s13, s12, s4
	s_add_co_i32 s14, s12, 1
	s_wait_alu 0xfffe
	s_sub_co_i32 s13, s8, s13
	s_wait_alu 0xfffe
	s_sub_co_i32 s15, s13, s4
	s_cmp_ge_u32 s13, s4
	s_cselect_b32 s12, s14, s12
	s_cselect_b32 s13, s15, s13
	s_wait_alu 0xfffe
	s_add_co_i32 s14, s12, 1
	s_cmp_ge_u32 s13, s4
	s_cselect_b32 s20, s14, s12
.LBB2_6:
	s_clause 0x2
	s_load_b128 s[12:15], s[0:1], 0x0
	s_load_b64 s[22:23], s[0:1], 0x10
	s_load_b32 s1, s[0:1], 0x54
	v_dual_mov_b32 v1, 0 :: v_dual_mov_b32 v2, 0
	v_mov_b32_e32 v3, 0
	s_mov_b32 s24, exec_lo
	s_delay_alu instid0(VALU_DEP_2)
	v_cmpx_gt_i64_e64 s[6:7], v[0:1]
	s_cbranch_execz .LBB2_10
; %bb.7:
	s_mul_u64 s[10:11], s[18:19], s[10:11]
	s_mul_u64 s[26:27], s[20:21], s[6:7]
	s_lshl_b64 s[10:11], s[10:11], 3
	v_lshlrev_b32_e32 v6, 3, v0
	s_lshl_b64 s[26:27], s[26:27], 3
	s_wait_kmcnt 0x0
	s_add_nc_u64 s[10:11], s[14:15], s[10:11]
	s_mul_u64 s[4:5], s[20:21], s[4:5]
	s_add_nc_u64 s[10:11], s[10:11], s[26:27]
	s_mul_u64 s[16:17], s[18:19], s[16:17]
	s_wait_alu 0xfffe
	s_sub_nc_u64 s[4:5], s[8:9], s[4:5]
	v_mov_b32_e32 v2, 0
	v_mov_b32_e32 v3, 0
	v_add_co_u32 v4, s0, s10, v6
	s_lshl_b64 s[8:9], s[16:17], 3
	s_wait_alu 0xfffe
	s_mul_u64 s[4:5], s[4:5], s[6:7]
	v_add_co_ci_u32_e64 v5, null, s11, 0, s0
	s_lshl_b64 s[14:15], s[6:7], 3
	s_add_nc_u64 s[6:7], s[22:23], s[8:9]
	s_wait_alu 0xfffe
	s_lshl_b64 s[4:5], s[4:5], 3
	s_and_b32 s0, s1, 0xffff
	s_add_nc_u64 s[14:15], s[10:11], s[14:15]
	s_mov_b32 s25, 0
	s_wait_alu 0xfffe
	s_add_nc_u64 s[4:5], s[6:7], s[4:5]
	s_lshl_b32 s6, s0, 3
	s_lshl_b32 s7, s0, 3
.LBB2_8:                                ; =>This Inner Loop Header: Depth=1
	v_add_co_u32 v7, vcc_lo, s10, v6
	s_wait_alu 0xfffd
	v_add_co_ci_u32_e64 v8, null, s11, v1, vcc_lo
	s_wait_alu 0xfffe
	v_add_co_u32 v9, vcc_lo, s4, v6
	s_wait_alu 0xfffd
	v_add_co_ci_u32_e64 v10, null, s5, v1, vcc_lo
	global_load_b64 v[7:8], v[7:8], off
	global_load_b64 v[9:10], v[9:10], off
	v_add_co_u32 v4, vcc_lo, v4, s7
	s_wait_alu 0xfffd
	v_add_co_ci_u32_e64 v5, null, 0, v5, vcc_lo
	v_add_co_u32 v6, s0, v6, s6
	s_wait_alu 0xf1ff
	v_add_co_ci_u32_e64 v1, null, 0, v1, s0
	s_delay_alu instid0(VALU_DEP_3) | instskip(SKIP_3) | instid1(VALU_DEP_1)
	v_cmp_le_u64_e32 vcc_lo, s[14:15], v[4:5]
	s_or_b32 s25, vcc_lo, s25
	s_wait_loadcnt 0x0
	v_add_f64_e64 v[7:8], v[7:8], -v[9:10]
	v_add_f64_e64 v[2:3], v[2:3], |v[7:8]|
	s_and_not1_b32 exec_lo, exec_lo, s25
	s_cbranch_execnz .LBB2_8
; %bb.9:
	s_or_b32 exec_lo, exec_lo, s25
.LBB2_10:
	s_delay_alu instid0(SALU_CYCLE_1) | instskip(SKIP_4) | instid1(VALU_DEP_2)
	s_or_b32 exec_lo, exec_lo, s24
	v_mbcnt_lo_u32_b32 v9, -1, 0
	v_and_b32_e32 v10, 31, v0
	s_mov_b32 s0, exec_lo
	s_barrier_signal -1
	v_lshl_or_b32 v5, v9, 2, 64
	v_cmp_gt_u32_e32 vcc_lo, 24, v9
	s_barrier_wait -1
	global_inv scope:SCOPE_SE
	ds_bpermute_b32 v6, v5, v2
	ds_bpermute_b32 v7, v5, v3
	s_wait_dscnt 0x0
	v_add_f64_e32 v[1:2], v[2:3], v[6:7]
	s_wait_alu 0xfffd
	v_cndmask_b32_e64 v3, 0, 8, vcc_lo
	v_cmp_gt_u32_e32 vcc_lo, 28, v9
	s_delay_alu instid0(VALU_DEP_2)
	v_add_lshl_u32 v6, v3, v9, 2
	ds_bpermute_b32 v3, v6, v1
	ds_bpermute_b32 v4, v6, v2
	s_wait_dscnt 0x0
	v_add_f64_e32 v[1:2], v[1:2], v[3:4]
	s_wait_alu 0xfffd
	v_cndmask_b32_e64 v3, 0, 4, vcc_lo
	v_cmp_gt_u32_e32 vcc_lo, 30, v9
	s_delay_alu instid0(VALU_DEP_2)
	v_add_lshl_u32 v7, v3, v9, 2
	ds_bpermute_b32 v3, v7, v1
	ds_bpermute_b32 v4, v7, v2
	s_wait_dscnt 0x0
	v_add_f64_e32 v[1:2], v[1:2], v[3:4]
	s_wait_alu 0xfffd
	v_cndmask_b32_e64 v3, 0, 2, vcc_lo
	v_cmp_ne_u32_e32 vcc_lo, 31, v9
	s_delay_alu instid0(VALU_DEP_2)
	v_add_lshl_u32 v8, v3, v9, 2
	ds_bpermute_b32 v3, v8, v1
	ds_bpermute_b32 v4, v8, v2
	s_wait_dscnt 0x0
	v_add_f64_e32 v[1:2], v[1:2], v[3:4]
	s_wait_alu 0xfffd
	v_add_co_ci_u32_e64 v3, null, 0, v9, vcc_lo
	s_delay_alu instid0(VALU_DEP_1)
	v_lshlrev_b32_e32 v9, 2, v3
	ds_bpermute_b32 v3, v9, v1
	ds_bpermute_b32 v4, v9, v2
	v_cmpx_eq_u32_e32 0, v10
	s_cbranch_execz .LBB2_12
; %bb.11:
	s_wait_dscnt 0x0
	v_add_f64_e32 v[1:2], v[1:2], v[3:4]
	v_lshrrev_b32_e32 v3, 2, v0
	ds_store_b64 v3, v[1:2]
.LBB2_12:
	s_wait_alu 0xfffe
	s_or_b32 exec_lo, exec_lo, s0
	s_wait_kmcnt 0x0
	s_and_b32 s0, 0xffff, s1
	v_mov_b32_e32 v1, 0
	s_wait_alu 0xfffe
	s_lshr_b32 s0, s0, 5
	v_mov_b32_e32 v2, 0
	s_wait_alu 0xfffe
	v_cmp_gt_u32_e32 vcc_lo, s0, v0
	s_wait_loadcnt_dscnt 0x0
	s_barrier_signal -1
	s_barrier_wait -1
	global_inv scope:SCOPE_SE
	s_and_saveexec_b32 s0, vcc_lo
; %bb.13:
	v_lshlrev_b32_e32 v1, 3, v10
	ds_load_b64 v[1:2], v1
; %bb.14:
	s_wait_alu 0xfffe
	s_or_b32 exec_lo, exec_lo, s0
	s_delay_alu instid0(SALU_CYCLE_1)
	s_mov_b32 s0, exec_lo
	v_cmpx_gt_u32_e32 32, v0
	s_cbranch_execz .LBB2_16
; %bb.15:
	s_wait_dscnt 0x0
	ds_bpermute_b32 v3, v5, v1
	ds_bpermute_b32 v4, v5, v2
	s_wait_dscnt 0x0
	v_add_f64_e32 v[1:2], v[1:2], v[3:4]
	ds_bpermute_b32 v3, v6, v1
	ds_bpermute_b32 v4, v6, v2
	s_wait_dscnt 0x0
	v_add_f64_e32 v[1:2], v[1:2], v[3:4]
	ds_bpermute_b32 v3, v7, v1
	ds_bpermute_b32 v4, v7, v2
	s_wait_dscnt 0x0
	v_add_f64_e32 v[1:2], v[1:2], v[3:4]
	ds_bpermute_b32 v3, v8, v1
	ds_bpermute_b32 v4, v8, v2
	s_wait_dscnt 0x0
	v_add_f64_e32 v[1:2], v[1:2], v[3:4]
	ds_bpermute_b32 v3, v9, v1
	ds_bpermute_b32 v4, v9, v2
	s_wait_dscnt 0x0
	v_add_f64_e32 v[1:2], v[1:2], v[3:4]
.LBB2_16:
	s_wait_alu 0xfffe
	s_or_b32 exec_lo, exec_lo, s0
	s_delay_alu instid0(SALU_CYCLE_1)
	s_mov_b32 s0, exec_lo
	v_cmpx_eq_u32_e32 0, v0
	s_cbranch_execz .LBB2_18
; %bb.17:
	v_mov_b32_e32 v0, 0
	s_lshl_b64 s[0:1], s[2:3], 3
	s_wait_alu 0xfffe
	s_add_nc_u64 s[0:1], s[12:13], s[0:1]
	s_wait_dscnt 0x0
	global_store_b64 v0, v[1:2], s[0:1]
.LBB2_18:
	s_endpgm
.LBB2_19:
                                        ; implicit-def: $sgpr18_sgpr19
	s_branch .LBB2_2
.LBB2_20:
                                        ; implicit-def: $sgpr20_sgpr21
	s_branch .LBB2_5
	.section	.rodata,"a",@progbits
	.p2align	6, 0x0
	.amdhsa_kernel _ZN2at6native12_GLOBAL__N_122cdist_kernel_cuda_implIdNS1_5distsIdE3oneEEEvPT_PKS6_S9_S6_lllll
		.amdhsa_group_segment_fixed_size 2048
		.amdhsa_private_segment_fixed_size 0
		.amdhsa_kernarg_size 328
		.amdhsa_user_sgpr_count 2
		.amdhsa_user_sgpr_dispatch_ptr 0
		.amdhsa_user_sgpr_queue_ptr 0
		.amdhsa_user_sgpr_kernarg_segment_ptr 1
		.amdhsa_user_sgpr_dispatch_id 0
		.amdhsa_user_sgpr_private_segment_size 0
		.amdhsa_wavefront_size32 1
		.amdhsa_uses_dynamic_stack 0
		.amdhsa_enable_private_segment 0
		.amdhsa_system_sgpr_workgroup_id_x 1
		.amdhsa_system_sgpr_workgroup_id_y 0
		.amdhsa_system_sgpr_workgroup_id_z 0
		.amdhsa_system_sgpr_workgroup_info 0
		.amdhsa_system_vgpr_workitem_id 0
		.amdhsa_next_free_vgpr 11
		.amdhsa_next_free_sgpr 36
		.amdhsa_reserve_vcc 1
		.amdhsa_float_round_mode_32 0
		.amdhsa_float_round_mode_16_64 0
		.amdhsa_float_denorm_mode_32 3
		.amdhsa_float_denorm_mode_16_64 3
		.amdhsa_fp16_overflow 0
		.amdhsa_workgroup_processor_mode 1
		.amdhsa_memory_ordered 1
		.amdhsa_forward_progress 1
		.amdhsa_inst_pref_size 19
		.amdhsa_round_robin_scheduling 0
		.amdhsa_exception_fp_ieee_invalid_op 0
		.amdhsa_exception_fp_denorm_src 0
		.amdhsa_exception_fp_ieee_div_zero 0
		.amdhsa_exception_fp_ieee_overflow 0
		.amdhsa_exception_fp_ieee_underflow 0
		.amdhsa_exception_fp_ieee_inexact 0
		.amdhsa_exception_int_div_zero 0
	.end_amdhsa_kernel
	.section	.text._ZN2at6native12_GLOBAL__N_122cdist_kernel_cuda_implIdNS1_5distsIdE3oneEEEvPT_PKS6_S9_S6_lllll,"axG",@progbits,_ZN2at6native12_GLOBAL__N_122cdist_kernel_cuda_implIdNS1_5distsIdE3oneEEEvPT_PKS6_S9_S6_lllll,comdat
.Lfunc_end2:
	.size	_ZN2at6native12_GLOBAL__N_122cdist_kernel_cuda_implIdNS1_5distsIdE3oneEEEvPT_PKS6_S9_S6_lllll, .Lfunc_end2-_ZN2at6native12_GLOBAL__N_122cdist_kernel_cuda_implIdNS1_5distsIdE3oneEEEvPT_PKS6_S9_S6_lllll
                                        ; -- End function
	.set _ZN2at6native12_GLOBAL__N_122cdist_kernel_cuda_implIdNS1_5distsIdE3oneEEEvPT_PKS6_S9_S6_lllll.num_vgpr, 11
	.set _ZN2at6native12_GLOBAL__N_122cdist_kernel_cuda_implIdNS1_5distsIdE3oneEEEvPT_PKS6_S9_S6_lllll.num_agpr, 0
	.set _ZN2at6native12_GLOBAL__N_122cdist_kernel_cuda_implIdNS1_5distsIdE3oneEEEvPT_PKS6_S9_S6_lllll.numbered_sgpr, 36
	.set _ZN2at6native12_GLOBAL__N_122cdist_kernel_cuda_implIdNS1_5distsIdE3oneEEEvPT_PKS6_S9_S6_lllll.num_named_barrier, 0
	.set _ZN2at6native12_GLOBAL__N_122cdist_kernel_cuda_implIdNS1_5distsIdE3oneEEEvPT_PKS6_S9_S6_lllll.private_seg_size, 0
	.set _ZN2at6native12_GLOBAL__N_122cdist_kernel_cuda_implIdNS1_5distsIdE3oneEEEvPT_PKS6_S9_S6_lllll.uses_vcc, 1
	.set _ZN2at6native12_GLOBAL__N_122cdist_kernel_cuda_implIdNS1_5distsIdE3oneEEEvPT_PKS6_S9_S6_lllll.uses_flat_scratch, 0
	.set _ZN2at6native12_GLOBAL__N_122cdist_kernel_cuda_implIdNS1_5distsIdE3oneEEEvPT_PKS6_S9_S6_lllll.has_dyn_sized_stack, 0
	.set _ZN2at6native12_GLOBAL__N_122cdist_kernel_cuda_implIdNS1_5distsIdE3oneEEEvPT_PKS6_S9_S6_lllll.has_recursion, 0
	.set _ZN2at6native12_GLOBAL__N_122cdist_kernel_cuda_implIdNS1_5distsIdE3oneEEEvPT_PKS6_S9_S6_lllll.has_indirect_call, 0
	.section	.AMDGPU.csdata,"",@progbits
; Kernel info:
; codeLenInByte = 2364
; TotalNumSgprs: 38
; NumVgprs: 11
; ScratchSize: 0
; MemoryBound: 0
; FloatMode: 240
; IeeeMode: 1
; LDSByteSize: 2048 bytes/workgroup (compile time only)
; SGPRBlocks: 0
; VGPRBlocks: 1
; NumSGPRsForWavesPerEU: 38
; NumVGPRsForWavesPerEU: 11
; Occupancy: 16
; WaveLimiterHint : 0
; COMPUTE_PGM_RSRC2:SCRATCH_EN: 0
; COMPUTE_PGM_RSRC2:USER_SGPR: 2
; COMPUTE_PGM_RSRC2:TRAP_HANDLER: 0
; COMPUTE_PGM_RSRC2:TGID_X_EN: 1
; COMPUTE_PGM_RSRC2:TGID_Y_EN: 0
; COMPUTE_PGM_RSRC2:TGID_Z_EN: 0
; COMPUTE_PGM_RSRC2:TIDIG_COMP_CNT: 0
	.section	.text._ZN2at6native12_GLOBAL__N_122cdist_kernel_cuda_implIdNS1_5distsIdE3twoEEEvPT_PKS6_S9_S6_lllll,"axG",@progbits,_ZN2at6native12_GLOBAL__N_122cdist_kernel_cuda_implIdNS1_5distsIdE3twoEEEvPT_PKS6_S9_S6_lllll,comdat
	.globl	_ZN2at6native12_GLOBAL__N_122cdist_kernel_cuda_implIdNS1_5distsIdE3twoEEEvPT_PKS6_S9_S6_lllll ; -- Begin function _ZN2at6native12_GLOBAL__N_122cdist_kernel_cuda_implIdNS1_5distsIdE3twoEEEvPT_PKS6_S9_S6_lllll
	.p2align	8
	.type	_ZN2at6native12_GLOBAL__N_122cdist_kernel_cuda_implIdNS1_5distsIdE3twoEEEvPT_PKS6_S9_S6_lllll,@function
_ZN2at6native12_GLOBAL__N_122cdist_kernel_cuda_implIdNS1_5distsIdE3twoEEEvPT_PKS6_S9_S6_lllll: ; @_ZN2at6native12_GLOBAL__N_122cdist_kernel_cuda_implIdNS1_5distsIdE3twoEEEvPT_PKS6_S9_S6_lllll
; %bb.0:
	s_clause 0x1
	s_load_b256 s[4:11], s[0:1], 0x20
	s_load_b64 s[16:17], s[0:1], 0x40
	s_mov_b32 s3, 0
	s_mov_b32 s2, ttmp9
	s_mov_b32 s12, s3
	s_wait_kmcnt 0x0
	s_mov_b32 s13, s9
	s_delay_alu instid0(SALU_CYCLE_1)
	s_cmp_lg_u64 s[12:13], 0
	s_cbranch_scc0 .LBB3_19
; %bb.1:
	s_ashr_i32 s12, s9, 31
	s_mov_b32 s23, s3
	s_mov_b32 s13, s12
	;; [unrolled: 1-line block ×3, first 2 shown]
	s_add_nc_u64 s[14:15], s[8:9], s[12:13]
	s_delay_alu instid0(SALU_CYCLE_1) | instskip(NEXT) | instid1(SALU_CYCLE_1)
	s_xor_b64 s[14:15], s[14:15], s[12:13]
	s_cvt_f32_u32 s18, s14
	s_cvt_f32_u32 s19, s15
	s_sub_nc_u64 s[20:21], 0, s[14:15]
	s_delay_alu instid0(SALU_CYCLE_2) | instskip(NEXT) | instid1(SALU_CYCLE_3)
	s_fmamk_f32 s18, s19, 0x4f800000, s18
	v_s_rcp_f32 s18, s18
	s_delay_alu instid0(TRANS32_DEP_1) | instskip(SKIP_1) | instid1(SALU_CYCLE_2)
	s_mul_f32 s18, s18, 0x5f7ffffc
	s_wait_alu 0xfffe
	s_mul_f32 s19, s18, 0x2f800000
	s_wait_alu 0xfffe
	s_delay_alu instid0(SALU_CYCLE_2) | instskip(SKIP_1) | instid1(SALU_CYCLE_2)
	s_trunc_f32 s19, s19
	s_wait_alu 0xfffe
	s_fmamk_f32 s18, s19, 0xcf800000, s18
	s_cvt_u32_f32 s19, s19
	s_wait_alu 0xfffe
	s_delay_alu instid0(SALU_CYCLE_1) | instskip(SKIP_1) | instid1(SALU_CYCLE_2)
	s_cvt_u32_f32 s18, s18
	s_wait_alu 0xfffe
	s_mul_u64 s[24:25], s[20:21], s[18:19]
	s_delay_alu instid0(SALU_CYCLE_1)
	s_mul_hi_u32 s29, s18, s25
	s_mul_i32 s28, s18, s25
	s_mul_hi_u32 s22, s18, s24
	s_mul_i32 s30, s19, s24
	s_add_nc_u64 s[22:23], s[22:23], s[28:29]
	s_mul_hi_u32 s26, s19, s24
	s_mul_hi_u32 s31, s19, s25
	s_add_co_u32 s22, s22, s30
	s_add_co_ci_u32 s26, s23, s26
	s_mul_i32 s24, s19, s25
	s_add_co_ci_u32 s25, s31, 0
	s_delay_alu instid0(SALU_CYCLE_1) | instskip(SKIP_3) | instid1(SALU_CYCLE_1)
	s_add_nc_u64 s[22:23], s[26:27], s[24:25]
	s_mov_b32 s25, s3
	s_add_co_u32 s18, s18, s22
	s_cselect_b32 s22, -1, 0
	s_cmp_lg_u32 s22, 0
	s_add_co_ci_u32 s19, s19, s23
	s_mov_b32 s23, s3
	s_wait_alu 0xfffe
	s_mul_u64 s[20:21], s[20:21], s[18:19]
	s_delay_alu instid0(SALU_CYCLE_1)
	s_mul_hi_u32 s27, s18, s21
	s_mul_i32 s26, s18, s21
	s_mul_hi_u32 s22, s18, s20
	s_mul_i32 s28, s19, s20
	s_add_nc_u64 s[22:23], s[22:23], s[26:27]
	s_mul_hi_u32 s24, s19, s20
	s_mul_hi_u32 s29, s19, s21
	s_mul_i32 s20, s19, s21
	s_add_co_u32 s21, s22, s28
	s_add_co_ci_u32 s24, s23, s24
	s_add_co_ci_u32 s21, s29, 0
	s_add_nc_u64 s[22:23], s[2:3], 0
	s_add_nc_u64 s[20:21], s[24:25], s[20:21]
	s_delay_alu instid0(SALU_CYCLE_1)
	s_add_co_u32 s20, s18, s20
	s_cselect_b32 s18, -1, 0
	s_wait_alu 0xfffe
	s_cmp_lg_u32 s18, 0
	s_add_co_ci_u32 s26, s19, s21
	s_xor_b64 s[18:19], s[22:23], 0
	s_mov_b32 s21, s3
	s_wait_alu 0xfffe
	s_mul_hi_u32 s23, s18, s26
	s_mul_i32 s22, s18, s26
	s_mul_hi_u32 s24, s18, s20
	s_mul_hi_u32 s28, s19, s20
	s_mul_i32 s20, s19, s20
	s_add_nc_u64 s[22:23], s[24:25], s[22:23]
	s_mul_hi_u32 s27, s19, s26
	s_add_co_u32 s20, s22, s20
	s_add_co_ci_u32 s20, s23, s28
	s_mul_i32 s24, s19, s26
	s_add_co_ci_u32 s25, s27, 0
	s_delay_alu instid0(SALU_CYCLE_1) | instskip(NEXT) | instid1(SALU_CYCLE_1)
	s_add_nc_u64 s[20:21], s[20:21], s[24:25]
	s_mul_u64 s[22:23], s[14:15], s[20:21]
	s_delay_alu instid0(SALU_CYCLE_1)
	s_sub_co_u32 s18, s18, s22
	s_cselect_b32 s22, -1, 0
	s_sub_co_i32 s24, s19, s23
	s_cmp_lg_u32 s22, 0
	s_sub_co_ci_u32 s24, s24, s15
	s_wait_alu 0xfffe
	s_sub_co_u32 s25, s18, s14
	s_cselect_b32 s26, -1, 0
	s_delay_alu instid0(SALU_CYCLE_1) | instskip(SKIP_1) | instid1(SALU_CYCLE_1)
	s_cmp_lg_u32 s26, 0
	s_sub_co_ci_u32 s24, s24, 0
	s_cmp_ge_u32 s24, s15
	s_cselect_b32 s26, -1, 0
	s_cmp_ge_u32 s25, s14
	s_cselect_b32 s27, -1, 0
	s_cmp_eq_u32 s24, s15
	s_add_nc_u64 s[24:25], s[20:21], 1
	s_cselect_b32 s28, s27, s26
	s_add_nc_u64 s[26:27], s[20:21], 2
	s_cmp_lg_u32 s28, 0
	s_cselect_b32 s24, s26, s24
	s_cselect_b32 s25, s27, s25
	s_cmp_lg_u32 s22, 0
	s_sub_co_ci_u32 s19, s19, s23
	s_wait_alu 0xfffe
	s_cmp_ge_u32 s19, s15
	s_cselect_b32 s22, -1, 0
	s_cmp_ge_u32 s18, s14
	s_cselect_b32 s14, -1, 0
	s_cmp_eq_u32 s19, s15
	s_cselect_b32 s14, s14, s22
	s_delay_alu instid0(SALU_CYCLE_1) | instskip(SKIP_3) | instid1(SALU_CYCLE_1)
	s_cmp_lg_u32 s14, 0
	s_cselect_b32 s15, s25, s21
	s_cselect_b32 s14, s24, s20
	s_xor_b64 s[12:13], 0, s[12:13]
	s_xor_b64 s[14:15], s[14:15], s[12:13]
	s_delay_alu instid0(SALU_CYCLE_1) | instskip(SKIP_1) | instid1(SALU_CYCLE_1)
	s_sub_nc_u64 s[18:19], s[14:15], s[12:13]
	s_mov_b32 s12, s3
	s_and_not1_b32 vcc_lo, exec_lo, s12
	s_cbranch_vccnz .LBB3_3
.LBB3_2:
	v_cvt_f32_u32_e32 v1, s8
	s_sub_co_i32 s13, 0, s8
	s_mov_b32 s19, 0
	s_delay_alu instid0(VALU_DEP_1) | instskip(NEXT) | instid1(TRANS32_DEP_1)
	v_rcp_iflag_f32_e32 v1, v1
	v_mul_f32_e32 v1, 0x4f7ffffe, v1
	s_delay_alu instid0(VALU_DEP_1) | instskip(NEXT) | instid1(VALU_DEP_1)
	v_cvt_u32_f32_e32 v1, v1
	v_readfirstlane_b32 s12, v1
	s_mul_i32 s13, s13, s12
	s_delay_alu instid0(SALU_CYCLE_1) | instskip(NEXT) | instid1(SALU_CYCLE_1)
	s_mul_hi_u32 s13, s12, s13
	s_add_co_i32 s12, s12, s13
	s_delay_alu instid0(SALU_CYCLE_1) | instskip(NEXT) | instid1(SALU_CYCLE_1)
	s_mul_hi_u32 s12, s2, s12
	s_mul_i32 s13, s12, s8
	s_add_co_i32 s14, s12, 1
	s_sub_co_i32 s13, s2, s13
	s_delay_alu instid0(SALU_CYCLE_1)
	s_sub_co_i32 s15, s13, s8
	s_cmp_ge_u32 s13, s8
	s_cselect_b32 s12, s14, s12
	s_cselect_b32 s13, s15, s13
	s_add_co_i32 s14, s12, 1
	s_cmp_ge_u32 s13, s8
	s_cselect_b32 s18, s14, s12
.LBB3_3:
	s_wait_alu 0xfffe
	s_mul_u64 s[8:9], s[18:19], s[8:9]
	s_wait_alu 0xfffe
	s_sub_nc_u64 s[8:9], s[2:3], s[8:9]
	s_wait_alu 0xfffe
	s_or_b64 s[12:13], s[8:9], s[4:5]
	s_mov_b32 s12, 0
	s_delay_alu instid0(SALU_CYCLE_1)
	s_cmp_lg_u64 s[12:13], 0
	s_cbranch_scc0 .LBB3_20
; %bb.4:
	s_ashr_i32 s14, s5, 31
	s_mov_b32 s27, s12
	s_mov_b32 s15, s14
	s_mov_b32 s31, s12
	s_add_nc_u64 s[20:21], s[4:5], s[14:15]
	s_delay_alu instid0(SALU_CYCLE_1) | instskip(NEXT) | instid1(SALU_CYCLE_1)
	s_xor_b64 s[20:21], s[20:21], s[14:15]
	s_cvt_f32_u32 s13, s20
	s_cvt_f32_u32 s22, s21
	s_sub_nc_u64 s[24:25], 0, s[20:21]
	s_delay_alu instid0(SALU_CYCLE_2) | instskip(NEXT) | instid1(SALU_CYCLE_3)
	s_fmamk_f32 s13, s22, 0x4f800000, s13
	v_s_rcp_f32 s13, s13
	s_delay_alu instid0(TRANS32_DEP_1) | instskip(SKIP_1) | instid1(SALU_CYCLE_2)
	s_mul_f32 s13, s13, 0x5f7ffffc
	s_wait_alu 0xfffe
	s_mul_f32 s22, s13, 0x2f800000
	s_delay_alu instid0(SALU_CYCLE_3) | instskip(NEXT) | instid1(SALU_CYCLE_3)
	s_trunc_f32 s22, s22
	s_fmamk_f32 s13, s22, 0xcf800000, s13
	s_cvt_u32_f32 s23, s22
	s_wait_alu 0xfffe
	s_delay_alu instid0(SALU_CYCLE_1) | instskip(NEXT) | instid1(SALU_CYCLE_3)
	s_cvt_u32_f32 s22, s13
	s_mul_u64 s[28:29], s[24:25], s[22:23]
	s_delay_alu instid0(SALU_CYCLE_1)
	s_mul_hi_u32 s35, s22, s29
	s_mul_i32 s34, s22, s29
	s_mul_hi_u32 s26, s22, s28
	s_mul_i32 s30, s23, s28
	s_add_nc_u64 s[26:27], s[26:27], s[34:35]
	s_mul_hi_u32 s13, s23, s28
	s_mul_hi_u32 s33, s23, s29
	s_add_co_u32 s26, s26, s30
	s_wait_alu 0xfffe
	s_add_co_ci_u32 s30, s27, s13
	s_mul_i32 s28, s23, s29
	s_add_co_ci_u32 s29, s33, 0
	s_delay_alu instid0(SALU_CYCLE_1)
	s_add_nc_u64 s[26:27], s[30:31], s[28:29]
	s_mov_b32 s29, s12
	s_add_co_u32 s22, s22, s26
	s_cselect_b32 s13, -1, 0
	s_wait_alu 0xfffe
	s_cmp_lg_u32 s13, 0
	s_add_co_ci_u32 s23, s23, s27
	s_mov_b32 s27, s12
	s_mul_u64 s[24:25], s[24:25], s[22:23]
	s_delay_alu instid0(SALU_CYCLE_1)
	s_mul_hi_u32 s31, s22, s25
	s_mul_i32 s30, s22, s25
	s_mul_hi_u32 s26, s22, s24
	s_mul_i32 s28, s23, s24
	s_add_nc_u64 s[26:27], s[26:27], s[30:31]
	s_mul_hi_u32 s13, s23, s24
	s_mul_hi_u32 s33, s23, s25
	s_mul_i32 s24, s23, s25
	s_add_co_u32 s25, s26, s28
	s_wait_alu 0xfffe
	s_add_co_ci_u32 s28, s27, s13
	s_add_co_ci_u32 s25, s33, 0
	s_mov_b32 s27, s12
	s_add_nc_u64 s[24:25], s[28:29], s[24:25]
	s_delay_alu instid0(SALU_CYCLE_1) | instskip(SKIP_1) | instid1(SALU_CYCLE_1)
	s_add_co_u32 s13, s22, s24
	s_cselect_b32 s22, -1, 0
	s_cmp_lg_u32 s22, 0
	s_add_co_ci_u32 s28, s23, s25
	s_ashr_i32 s22, s9, 31
	s_delay_alu instid0(SALU_CYCLE_1) | instskip(NEXT) | instid1(SALU_CYCLE_1)
	s_mov_b32 s23, s22
	s_add_nc_u64 s[24:25], s[8:9], s[22:23]
	s_delay_alu instid0(SALU_CYCLE_1) | instskip(NEXT) | instid1(SALU_CYCLE_1)
	s_xor_b64 s[24:25], s[24:25], s[22:23]
	s_mul_hi_u32 s31, s24, s28
	s_mul_i32 s30, s24, s28
	s_wait_alu 0xfffe
	s_mul_hi_u32 s26, s24, s13
	s_mul_hi_u32 s34, s25, s13
	s_mul_i32 s13, s25, s13
	s_add_nc_u64 s[26:27], s[26:27], s[30:31]
	s_mul_hi_u32 s33, s25, s28
	s_wait_alu 0xfffe
	s_add_co_u32 s13, s26, s13
	s_mul_i32 s30, s25, s28
	s_add_co_ci_u32 s28, s27, s34
	s_add_co_ci_u32 s31, s33, 0
	s_delay_alu instid0(SALU_CYCLE_1) | instskip(NEXT) | instid1(SALU_CYCLE_1)
	s_add_nc_u64 s[26:27], s[28:29], s[30:31]
	s_mul_u64 s[28:29], s[20:21], s[26:27]
	s_delay_alu instid0(SALU_CYCLE_1)
	s_sub_co_u32 s13, s24, s28
	s_cselect_b32 s24, -1, 0
	s_sub_co_i32 s28, s25, s29
	s_cmp_lg_u32 s24, 0
	s_sub_co_ci_u32 s28, s28, s21
	s_wait_alu 0xfffe
	s_sub_co_u32 s30, s13, s20
	s_cselect_b32 s31, -1, 0
	s_delay_alu instid0(SALU_CYCLE_1) | instskip(SKIP_1) | instid1(SALU_CYCLE_1)
	s_cmp_lg_u32 s31, 0
	s_sub_co_ci_u32 s28, s28, 0
	s_cmp_ge_u32 s28, s21
	s_cselect_b32 s33, -1, 0
	s_cmp_ge_u32 s30, s20
	s_add_nc_u64 s[30:31], s[26:27], 1
	s_cselect_b32 s34, -1, 0
	s_cmp_eq_u32 s28, s21
	s_cselect_b32 s28, s34, s33
	s_add_nc_u64 s[34:35], s[26:27], 2
	s_cmp_lg_u32 s28, 0
	s_cselect_b32 s28, s34, s30
	s_cselect_b32 s30, s35, s31
	s_cmp_lg_u32 s24, 0
	s_sub_co_ci_u32 s24, s25, s29
	s_delay_alu instid0(SALU_CYCLE_1)
	s_cmp_ge_u32 s24, s21
	s_cselect_b32 s25, -1, 0
	s_cmp_ge_u32 s13, s20
	s_cselect_b32 s13, -1, 0
	s_cmp_eq_u32 s24, s21
	s_wait_alu 0xfffe
	s_cselect_b32 s13, s13, s25
	s_wait_alu 0xfffe
	s_cmp_lg_u32 s13, 0
	s_cselect_b32 s21, s30, s27
	s_cselect_b32 s20, s28, s26
	s_xor_b64 s[14:15], s[22:23], s[14:15]
	s_delay_alu instid0(SALU_CYCLE_1) | instskip(NEXT) | instid1(SALU_CYCLE_1)
	s_xor_b64 s[20:21], s[20:21], s[14:15]
	s_sub_nc_u64 s[20:21], s[20:21], s[14:15]
	s_and_not1_b32 vcc_lo, exec_lo, s12
	s_cbranch_vccnz .LBB3_6
.LBB3_5:
	v_cvt_f32_u32_e32 v1, s4
	s_sub_co_i32 s13, 0, s4
	s_mov_b32 s21, 0
	s_delay_alu instid0(VALU_DEP_1) | instskip(NEXT) | instid1(TRANS32_DEP_1)
	v_rcp_iflag_f32_e32 v1, v1
	v_mul_f32_e32 v1, 0x4f7ffffe, v1
	s_delay_alu instid0(VALU_DEP_1) | instskip(NEXT) | instid1(VALU_DEP_1)
	v_cvt_u32_f32_e32 v1, v1
	v_readfirstlane_b32 s12, v1
	s_wait_alu 0xfffe
	s_mul_i32 s13, s13, s12
	s_wait_alu 0xfffe
	s_mul_hi_u32 s13, s12, s13
	s_wait_alu 0xfffe
	s_add_co_i32 s12, s12, s13
	s_wait_alu 0xfffe
	s_mul_hi_u32 s12, s8, s12
	s_wait_alu 0xfffe
	s_mul_i32 s13, s12, s4
	s_add_co_i32 s14, s12, 1
	s_wait_alu 0xfffe
	s_sub_co_i32 s13, s8, s13
	s_wait_alu 0xfffe
	s_sub_co_i32 s15, s13, s4
	s_cmp_ge_u32 s13, s4
	s_cselect_b32 s12, s14, s12
	s_cselect_b32 s13, s15, s13
	s_wait_alu 0xfffe
	s_add_co_i32 s14, s12, 1
	s_cmp_ge_u32 s13, s4
	s_cselect_b32 s20, s14, s12
.LBB3_6:
	s_clause 0x2
	s_load_b128 s[12:15], s[0:1], 0x0
	s_load_b64 s[22:23], s[0:1], 0x10
	s_load_b32 s1, s[0:1], 0x54
	v_dual_mov_b32 v1, 0 :: v_dual_mov_b32 v2, 0
	v_mov_b32_e32 v3, 0
	s_mov_b32 s24, exec_lo
	s_delay_alu instid0(VALU_DEP_2)
	v_cmpx_gt_i64_e64 s[6:7], v[0:1]
	s_cbranch_execz .LBB3_10
; %bb.7:
	s_mul_u64 s[10:11], s[18:19], s[10:11]
	s_mul_u64 s[26:27], s[20:21], s[6:7]
	s_lshl_b64 s[10:11], s[10:11], 3
	v_lshlrev_b32_e32 v6, 3, v0
	s_lshl_b64 s[26:27], s[26:27], 3
	s_wait_kmcnt 0x0
	s_add_nc_u64 s[10:11], s[14:15], s[10:11]
	s_mul_u64 s[4:5], s[20:21], s[4:5]
	s_add_nc_u64 s[10:11], s[10:11], s[26:27]
	s_mul_u64 s[16:17], s[18:19], s[16:17]
	s_wait_alu 0xfffe
	s_sub_nc_u64 s[4:5], s[8:9], s[4:5]
	v_mov_b32_e32 v2, 0
	v_mov_b32_e32 v3, 0
	v_add_co_u32 v4, s0, s10, v6
	s_lshl_b64 s[8:9], s[16:17], 3
	s_wait_alu 0xfffe
	s_mul_u64 s[4:5], s[4:5], s[6:7]
	v_add_co_ci_u32_e64 v5, null, s11, 0, s0
	s_lshl_b64 s[14:15], s[6:7], 3
	s_add_nc_u64 s[6:7], s[22:23], s[8:9]
	s_wait_alu 0xfffe
	s_lshl_b64 s[4:5], s[4:5], 3
	s_and_b32 s0, s1, 0xffff
	s_add_nc_u64 s[14:15], s[10:11], s[14:15]
	s_mov_b32 s25, 0
	s_wait_alu 0xfffe
	s_add_nc_u64 s[4:5], s[6:7], s[4:5]
	s_lshl_b32 s6, s0, 3
	s_lshl_b32 s7, s0, 3
.LBB3_8:                                ; =>This Inner Loop Header: Depth=1
	v_add_co_u32 v7, vcc_lo, s10, v6
	s_wait_alu 0xfffd
	v_add_co_ci_u32_e64 v8, null, s11, v1, vcc_lo
	s_wait_alu 0xfffe
	v_add_co_u32 v9, vcc_lo, s4, v6
	s_wait_alu 0xfffd
	v_add_co_ci_u32_e64 v10, null, s5, v1, vcc_lo
	global_load_b64 v[7:8], v[7:8], off
	global_load_b64 v[9:10], v[9:10], off
	v_add_co_u32 v4, vcc_lo, v4, s7
	s_wait_alu 0xfffd
	v_add_co_ci_u32_e64 v5, null, 0, v5, vcc_lo
	v_add_co_u32 v6, s0, v6, s6
	s_wait_alu 0xf1ff
	v_add_co_ci_u32_e64 v1, null, 0, v1, s0
	s_delay_alu instid0(VALU_DEP_3) | instskip(SKIP_3) | instid1(VALU_DEP_1)
	v_cmp_le_u64_e32 vcc_lo, s[14:15], v[4:5]
	s_or_b32 s25, vcc_lo, s25
	s_wait_loadcnt 0x0
	v_add_f64_e64 v[7:8], v[7:8], -v[9:10]
	v_fma_f64 v[2:3], v[7:8], v[7:8], v[2:3]
	s_and_not1_b32 exec_lo, exec_lo, s25
	s_cbranch_execnz .LBB3_8
; %bb.9:
	s_or_b32 exec_lo, exec_lo, s25
.LBB3_10:
	s_delay_alu instid0(SALU_CYCLE_1) | instskip(SKIP_4) | instid1(VALU_DEP_2)
	s_or_b32 exec_lo, exec_lo, s24
	v_mbcnt_lo_u32_b32 v9, -1, 0
	v_and_b32_e32 v10, 31, v0
	s_mov_b32 s0, exec_lo
	s_barrier_signal -1
	v_lshl_or_b32 v5, v9, 2, 64
	v_cmp_gt_u32_e32 vcc_lo, 24, v9
	s_barrier_wait -1
	global_inv scope:SCOPE_SE
	ds_bpermute_b32 v6, v5, v2
	ds_bpermute_b32 v7, v5, v3
	s_wait_dscnt 0x0
	v_add_f64_e32 v[1:2], v[2:3], v[6:7]
	s_wait_alu 0xfffd
	v_cndmask_b32_e64 v3, 0, 8, vcc_lo
	v_cmp_gt_u32_e32 vcc_lo, 28, v9
	s_delay_alu instid0(VALU_DEP_2)
	v_add_lshl_u32 v6, v3, v9, 2
	ds_bpermute_b32 v3, v6, v1
	ds_bpermute_b32 v4, v6, v2
	s_wait_dscnt 0x0
	v_add_f64_e32 v[1:2], v[1:2], v[3:4]
	s_wait_alu 0xfffd
	v_cndmask_b32_e64 v3, 0, 4, vcc_lo
	v_cmp_gt_u32_e32 vcc_lo, 30, v9
	s_delay_alu instid0(VALU_DEP_2)
	v_add_lshl_u32 v7, v3, v9, 2
	ds_bpermute_b32 v3, v7, v1
	ds_bpermute_b32 v4, v7, v2
	s_wait_dscnt 0x0
	v_add_f64_e32 v[1:2], v[1:2], v[3:4]
	s_wait_alu 0xfffd
	v_cndmask_b32_e64 v3, 0, 2, vcc_lo
	v_cmp_ne_u32_e32 vcc_lo, 31, v9
	s_delay_alu instid0(VALU_DEP_2)
	v_add_lshl_u32 v8, v3, v9, 2
	ds_bpermute_b32 v3, v8, v1
	ds_bpermute_b32 v4, v8, v2
	s_wait_dscnt 0x0
	v_add_f64_e32 v[1:2], v[1:2], v[3:4]
	s_wait_alu 0xfffd
	v_add_co_ci_u32_e64 v3, null, 0, v9, vcc_lo
	s_delay_alu instid0(VALU_DEP_1)
	v_lshlrev_b32_e32 v9, 2, v3
	ds_bpermute_b32 v3, v9, v1
	ds_bpermute_b32 v4, v9, v2
	v_cmpx_eq_u32_e32 0, v10
	s_cbranch_execz .LBB3_12
; %bb.11:
	s_wait_dscnt 0x0
	v_add_f64_e32 v[1:2], v[1:2], v[3:4]
	v_lshrrev_b32_e32 v3, 2, v0
	ds_store_b64 v3, v[1:2]
.LBB3_12:
	s_wait_alu 0xfffe
	s_or_b32 exec_lo, exec_lo, s0
	s_wait_kmcnt 0x0
	s_and_b32 s0, 0xffff, s1
	v_mov_b32_e32 v1, 0
	s_wait_alu 0xfffe
	s_lshr_b32 s0, s0, 5
	v_mov_b32_e32 v2, 0
	s_wait_alu 0xfffe
	v_cmp_gt_u32_e32 vcc_lo, s0, v0
	s_wait_loadcnt_dscnt 0x0
	s_barrier_signal -1
	s_barrier_wait -1
	global_inv scope:SCOPE_SE
	s_and_saveexec_b32 s0, vcc_lo
; %bb.13:
	v_lshlrev_b32_e32 v1, 3, v10
	ds_load_b64 v[1:2], v1
; %bb.14:
	s_wait_alu 0xfffe
	s_or_b32 exec_lo, exec_lo, s0
	s_delay_alu instid0(SALU_CYCLE_1)
	s_mov_b32 s0, exec_lo
	v_cmpx_gt_u32_e32 32, v0
	s_cbranch_execz .LBB3_16
; %bb.15:
	s_wait_dscnt 0x0
	ds_bpermute_b32 v3, v5, v1
	ds_bpermute_b32 v4, v5, v2
	s_wait_dscnt 0x0
	v_add_f64_e32 v[1:2], v[1:2], v[3:4]
	ds_bpermute_b32 v3, v6, v1
	ds_bpermute_b32 v4, v6, v2
	s_wait_dscnt 0x0
	v_add_f64_e32 v[1:2], v[1:2], v[3:4]
	;; [unrolled: 4-line block ×5, first 2 shown]
.LBB3_16:
	s_wait_alu 0xfffe
	s_or_b32 exec_lo, exec_lo, s0
	s_delay_alu instid0(SALU_CYCLE_1)
	s_mov_b32 s0, exec_lo
	v_cmpx_eq_u32_e32 0, v0
	s_cbranch_execz .LBB3_18
; %bb.17:
	s_wait_dscnt 0x0
	s_delay_alu instid0(VALU_DEP_2)
	v_cmp_gt_f64_e32 vcc_lo, 0x10000000, v[1:2]
	s_lshl_b64 s[0:1], s[2:3], 3
	s_wait_alu 0xfffe
	s_add_nc_u64 s[0:1], s[12:13], s[0:1]
	s_wait_alu 0xfffd
	v_cndmask_b32_e64 v0, 0, 0x100, vcc_lo
	s_delay_alu instid0(VALU_DEP_1) | instskip(NEXT) | instid1(VALU_DEP_1)
	v_ldexp_f64 v[0:1], v[1:2], v0
	v_rsq_f64_e32 v[2:3], v[0:1]
	s_delay_alu instid0(TRANS32_DEP_1) | instskip(SKIP_1) | instid1(VALU_DEP_1)
	v_mul_f64_e32 v[4:5], v[0:1], v[2:3]
	v_mul_f64_e32 v[2:3], 0.5, v[2:3]
	v_fma_f64 v[6:7], -v[2:3], v[4:5], 0.5
	s_delay_alu instid0(VALU_DEP_1) | instskip(SKIP_1) | instid1(VALU_DEP_2)
	v_fma_f64 v[4:5], v[4:5], v[6:7], v[4:5]
	v_fma_f64 v[2:3], v[2:3], v[6:7], v[2:3]
	v_fma_f64 v[6:7], -v[4:5], v[4:5], v[0:1]
	s_delay_alu instid0(VALU_DEP_1) | instskip(NEXT) | instid1(VALU_DEP_1)
	v_fma_f64 v[4:5], v[6:7], v[2:3], v[4:5]
	v_fma_f64 v[6:7], -v[4:5], v[4:5], v[0:1]
	s_delay_alu instid0(VALU_DEP_1) | instskip(SKIP_2) | instid1(VALU_DEP_2)
	v_fma_f64 v[2:3], v[6:7], v[2:3], v[4:5]
	v_cndmask_b32_e64 v4, 0, 0xffffff80, vcc_lo
	v_cmp_class_f64_e64 vcc_lo, v[0:1], 0x260
	v_ldexp_f64 v[2:3], v[2:3], v4
	s_wait_alu 0xfffd
	s_delay_alu instid0(VALU_DEP_1) | instskip(NEXT) | instid1(VALU_DEP_2)
	v_dual_mov_b32 v4, 0 :: v_dual_cndmask_b32 v1, v3, v1
	v_cndmask_b32_e32 v0, v2, v0, vcc_lo
	global_store_b64 v4, v[0:1], s[0:1]
.LBB3_18:
	s_endpgm
.LBB3_19:
                                        ; implicit-def: $sgpr18_sgpr19
	s_branch .LBB3_2
.LBB3_20:
                                        ; implicit-def: $sgpr20_sgpr21
	s_branch .LBB3_5
	.section	.rodata,"a",@progbits
	.p2align	6, 0x0
	.amdhsa_kernel _ZN2at6native12_GLOBAL__N_122cdist_kernel_cuda_implIdNS1_5distsIdE3twoEEEvPT_PKS6_S9_S6_lllll
		.amdhsa_group_segment_fixed_size 2048
		.amdhsa_private_segment_fixed_size 0
		.amdhsa_kernarg_size 328
		.amdhsa_user_sgpr_count 2
		.amdhsa_user_sgpr_dispatch_ptr 0
		.amdhsa_user_sgpr_queue_ptr 0
		.amdhsa_user_sgpr_kernarg_segment_ptr 1
		.amdhsa_user_sgpr_dispatch_id 0
		.amdhsa_user_sgpr_private_segment_size 0
		.amdhsa_wavefront_size32 1
		.amdhsa_uses_dynamic_stack 0
		.amdhsa_enable_private_segment 0
		.amdhsa_system_sgpr_workgroup_id_x 1
		.amdhsa_system_sgpr_workgroup_id_y 0
		.amdhsa_system_sgpr_workgroup_id_z 0
		.amdhsa_system_sgpr_workgroup_info 0
		.amdhsa_system_vgpr_workitem_id 0
		.amdhsa_next_free_vgpr 11
		.amdhsa_next_free_sgpr 36
		.amdhsa_reserve_vcc 1
		.amdhsa_float_round_mode_32 0
		.amdhsa_float_round_mode_16_64 0
		.amdhsa_float_denorm_mode_32 3
		.amdhsa_float_denorm_mode_16_64 3
		.amdhsa_fp16_overflow 0
		.amdhsa_workgroup_processor_mode 1
		.amdhsa_memory_ordered 1
		.amdhsa_forward_progress 1
		.amdhsa_inst_pref_size 20
		.amdhsa_round_robin_scheduling 0
		.amdhsa_exception_fp_ieee_invalid_op 0
		.amdhsa_exception_fp_denorm_src 0
		.amdhsa_exception_fp_ieee_div_zero 0
		.amdhsa_exception_fp_ieee_overflow 0
		.amdhsa_exception_fp_ieee_underflow 0
		.amdhsa_exception_fp_ieee_inexact 0
		.amdhsa_exception_int_div_zero 0
	.end_amdhsa_kernel
	.section	.text._ZN2at6native12_GLOBAL__N_122cdist_kernel_cuda_implIdNS1_5distsIdE3twoEEEvPT_PKS6_S9_S6_lllll,"axG",@progbits,_ZN2at6native12_GLOBAL__N_122cdist_kernel_cuda_implIdNS1_5distsIdE3twoEEEvPT_PKS6_S9_S6_lllll,comdat
.Lfunc_end3:
	.size	_ZN2at6native12_GLOBAL__N_122cdist_kernel_cuda_implIdNS1_5distsIdE3twoEEEvPT_PKS6_S9_S6_lllll, .Lfunc_end3-_ZN2at6native12_GLOBAL__N_122cdist_kernel_cuda_implIdNS1_5distsIdE3twoEEEvPT_PKS6_S9_S6_lllll
                                        ; -- End function
	.set _ZN2at6native12_GLOBAL__N_122cdist_kernel_cuda_implIdNS1_5distsIdE3twoEEEvPT_PKS6_S9_S6_lllll.num_vgpr, 11
	.set _ZN2at6native12_GLOBAL__N_122cdist_kernel_cuda_implIdNS1_5distsIdE3twoEEEvPT_PKS6_S9_S6_lllll.num_agpr, 0
	.set _ZN2at6native12_GLOBAL__N_122cdist_kernel_cuda_implIdNS1_5distsIdE3twoEEEvPT_PKS6_S9_S6_lllll.numbered_sgpr, 36
	.set _ZN2at6native12_GLOBAL__N_122cdist_kernel_cuda_implIdNS1_5distsIdE3twoEEEvPT_PKS6_S9_S6_lllll.num_named_barrier, 0
	.set _ZN2at6native12_GLOBAL__N_122cdist_kernel_cuda_implIdNS1_5distsIdE3twoEEEvPT_PKS6_S9_S6_lllll.private_seg_size, 0
	.set _ZN2at6native12_GLOBAL__N_122cdist_kernel_cuda_implIdNS1_5distsIdE3twoEEEvPT_PKS6_S9_S6_lllll.uses_vcc, 1
	.set _ZN2at6native12_GLOBAL__N_122cdist_kernel_cuda_implIdNS1_5distsIdE3twoEEEvPT_PKS6_S9_S6_lllll.uses_flat_scratch, 0
	.set _ZN2at6native12_GLOBAL__N_122cdist_kernel_cuda_implIdNS1_5distsIdE3twoEEEvPT_PKS6_S9_S6_lllll.has_dyn_sized_stack, 0
	.set _ZN2at6native12_GLOBAL__N_122cdist_kernel_cuda_implIdNS1_5distsIdE3twoEEEvPT_PKS6_S9_S6_lllll.has_recursion, 0
	.set _ZN2at6native12_GLOBAL__N_122cdist_kernel_cuda_implIdNS1_5distsIdE3twoEEEvPT_PKS6_S9_S6_lllll.has_indirect_call, 0
	.section	.AMDGPU.csdata,"",@progbits
; Kernel info:
; codeLenInByte = 2536
; TotalNumSgprs: 38
; NumVgprs: 11
; ScratchSize: 0
; MemoryBound: 0
; FloatMode: 240
; IeeeMode: 1
; LDSByteSize: 2048 bytes/workgroup (compile time only)
; SGPRBlocks: 0
; VGPRBlocks: 1
; NumSGPRsForWavesPerEU: 38
; NumVGPRsForWavesPerEU: 11
; Occupancy: 16
; WaveLimiterHint : 0
; COMPUTE_PGM_RSRC2:SCRATCH_EN: 0
; COMPUTE_PGM_RSRC2:USER_SGPR: 2
; COMPUTE_PGM_RSRC2:TRAP_HANDLER: 0
; COMPUTE_PGM_RSRC2:TGID_X_EN: 1
; COMPUTE_PGM_RSRC2:TGID_Y_EN: 0
; COMPUTE_PGM_RSRC2:TGID_Z_EN: 0
; COMPUTE_PGM_RSRC2:TIDIG_COMP_CNT: 0
	.section	.text._ZN2at6native12_GLOBAL__N_122cdist_kernel_cuda_implIdNS1_5distsIdE3infEEEvPT_PKS6_S9_S6_lllll,"axG",@progbits,_ZN2at6native12_GLOBAL__N_122cdist_kernel_cuda_implIdNS1_5distsIdE3infEEEvPT_PKS6_S9_S6_lllll,comdat
	.globl	_ZN2at6native12_GLOBAL__N_122cdist_kernel_cuda_implIdNS1_5distsIdE3infEEEvPT_PKS6_S9_S6_lllll ; -- Begin function _ZN2at6native12_GLOBAL__N_122cdist_kernel_cuda_implIdNS1_5distsIdE3infEEEvPT_PKS6_S9_S6_lllll
	.p2align	8
	.type	_ZN2at6native12_GLOBAL__N_122cdist_kernel_cuda_implIdNS1_5distsIdE3infEEEvPT_PKS6_S9_S6_lllll,@function
_ZN2at6native12_GLOBAL__N_122cdist_kernel_cuda_implIdNS1_5distsIdE3infEEEvPT_PKS6_S9_S6_lllll: ; @_ZN2at6native12_GLOBAL__N_122cdist_kernel_cuda_implIdNS1_5distsIdE3infEEEvPT_PKS6_S9_S6_lllll
; %bb.0:
	s_clause 0x1
	s_load_b256 s[4:11], s[0:1], 0x20
	s_load_b64 s[16:17], s[0:1], 0x40
	s_mov_b32 s3, 0
	s_mov_b32 s2, ttmp9
	s_mov_b32 s12, s3
	s_wait_kmcnt 0x0
	s_mov_b32 s13, s9
	s_delay_alu instid0(SALU_CYCLE_1)
	s_cmp_lg_u64 s[12:13], 0
	s_cbranch_scc0 .LBB4_19
; %bb.1:
	s_ashr_i32 s12, s9, 31
	s_mov_b32 s23, s3
	s_mov_b32 s13, s12
	;; [unrolled: 1-line block ×3, first 2 shown]
	s_add_nc_u64 s[14:15], s[8:9], s[12:13]
	s_delay_alu instid0(SALU_CYCLE_1) | instskip(NEXT) | instid1(SALU_CYCLE_1)
	s_xor_b64 s[14:15], s[14:15], s[12:13]
	s_cvt_f32_u32 s18, s14
	s_cvt_f32_u32 s19, s15
	s_sub_nc_u64 s[20:21], 0, s[14:15]
	s_delay_alu instid0(SALU_CYCLE_2) | instskip(NEXT) | instid1(SALU_CYCLE_3)
	s_fmamk_f32 s18, s19, 0x4f800000, s18
	v_s_rcp_f32 s18, s18
	s_delay_alu instid0(TRANS32_DEP_1) | instskip(SKIP_1) | instid1(SALU_CYCLE_2)
	s_mul_f32 s18, s18, 0x5f7ffffc
	s_wait_alu 0xfffe
	s_mul_f32 s19, s18, 0x2f800000
	s_wait_alu 0xfffe
	s_delay_alu instid0(SALU_CYCLE_2) | instskip(SKIP_1) | instid1(SALU_CYCLE_2)
	s_trunc_f32 s19, s19
	s_wait_alu 0xfffe
	s_fmamk_f32 s18, s19, 0xcf800000, s18
	s_cvt_u32_f32 s19, s19
	s_wait_alu 0xfffe
	s_delay_alu instid0(SALU_CYCLE_1) | instskip(SKIP_1) | instid1(SALU_CYCLE_2)
	s_cvt_u32_f32 s18, s18
	s_wait_alu 0xfffe
	s_mul_u64 s[24:25], s[20:21], s[18:19]
	s_delay_alu instid0(SALU_CYCLE_1)
	s_mul_hi_u32 s29, s18, s25
	s_mul_i32 s28, s18, s25
	s_mul_hi_u32 s22, s18, s24
	s_mul_i32 s30, s19, s24
	s_add_nc_u64 s[22:23], s[22:23], s[28:29]
	s_mul_hi_u32 s26, s19, s24
	s_mul_hi_u32 s31, s19, s25
	s_add_co_u32 s22, s22, s30
	s_add_co_ci_u32 s26, s23, s26
	s_mul_i32 s24, s19, s25
	s_add_co_ci_u32 s25, s31, 0
	s_delay_alu instid0(SALU_CYCLE_1) | instskip(SKIP_3) | instid1(SALU_CYCLE_1)
	s_add_nc_u64 s[22:23], s[26:27], s[24:25]
	s_mov_b32 s25, s3
	s_add_co_u32 s18, s18, s22
	s_cselect_b32 s22, -1, 0
	s_cmp_lg_u32 s22, 0
	s_add_co_ci_u32 s19, s19, s23
	s_mov_b32 s23, s3
	s_wait_alu 0xfffe
	s_mul_u64 s[20:21], s[20:21], s[18:19]
	s_delay_alu instid0(SALU_CYCLE_1)
	s_mul_hi_u32 s27, s18, s21
	s_mul_i32 s26, s18, s21
	s_mul_hi_u32 s22, s18, s20
	s_mul_i32 s28, s19, s20
	s_add_nc_u64 s[22:23], s[22:23], s[26:27]
	s_mul_hi_u32 s24, s19, s20
	s_mul_hi_u32 s29, s19, s21
	s_mul_i32 s20, s19, s21
	s_add_co_u32 s21, s22, s28
	s_add_co_ci_u32 s24, s23, s24
	s_add_co_ci_u32 s21, s29, 0
	s_add_nc_u64 s[22:23], s[2:3], 0
	s_add_nc_u64 s[20:21], s[24:25], s[20:21]
	s_delay_alu instid0(SALU_CYCLE_1)
	s_add_co_u32 s20, s18, s20
	s_cselect_b32 s18, -1, 0
	s_wait_alu 0xfffe
	s_cmp_lg_u32 s18, 0
	s_add_co_ci_u32 s26, s19, s21
	s_xor_b64 s[18:19], s[22:23], 0
	s_mov_b32 s21, s3
	s_wait_alu 0xfffe
	s_mul_hi_u32 s23, s18, s26
	s_mul_i32 s22, s18, s26
	s_mul_hi_u32 s24, s18, s20
	s_mul_hi_u32 s28, s19, s20
	s_mul_i32 s20, s19, s20
	s_add_nc_u64 s[22:23], s[24:25], s[22:23]
	s_mul_hi_u32 s27, s19, s26
	s_add_co_u32 s20, s22, s20
	s_add_co_ci_u32 s20, s23, s28
	s_mul_i32 s24, s19, s26
	s_add_co_ci_u32 s25, s27, 0
	s_delay_alu instid0(SALU_CYCLE_1) | instskip(NEXT) | instid1(SALU_CYCLE_1)
	s_add_nc_u64 s[20:21], s[20:21], s[24:25]
	s_mul_u64 s[22:23], s[14:15], s[20:21]
	s_delay_alu instid0(SALU_CYCLE_1)
	s_sub_co_u32 s18, s18, s22
	s_cselect_b32 s22, -1, 0
	s_sub_co_i32 s24, s19, s23
	s_cmp_lg_u32 s22, 0
	s_sub_co_ci_u32 s24, s24, s15
	s_wait_alu 0xfffe
	s_sub_co_u32 s25, s18, s14
	s_cselect_b32 s26, -1, 0
	s_delay_alu instid0(SALU_CYCLE_1) | instskip(SKIP_1) | instid1(SALU_CYCLE_1)
	s_cmp_lg_u32 s26, 0
	s_sub_co_ci_u32 s24, s24, 0
	s_cmp_ge_u32 s24, s15
	s_cselect_b32 s26, -1, 0
	s_cmp_ge_u32 s25, s14
	s_cselect_b32 s27, -1, 0
	s_cmp_eq_u32 s24, s15
	s_add_nc_u64 s[24:25], s[20:21], 1
	s_cselect_b32 s28, s27, s26
	s_add_nc_u64 s[26:27], s[20:21], 2
	s_cmp_lg_u32 s28, 0
	s_cselect_b32 s24, s26, s24
	s_cselect_b32 s25, s27, s25
	s_cmp_lg_u32 s22, 0
	s_sub_co_ci_u32 s19, s19, s23
	s_wait_alu 0xfffe
	s_cmp_ge_u32 s19, s15
	s_cselect_b32 s22, -1, 0
	s_cmp_ge_u32 s18, s14
	s_cselect_b32 s14, -1, 0
	s_cmp_eq_u32 s19, s15
	s_cselect_b32 s14, s14, s22
	s_delay_alu instid0(SALU_CYCLE_1) | instskip(SKIP_3) | instid1(SALU_CYCLE_1)
	s_cmp_lg_u32 s14, 0
	s_cselect_b32 s15, s25, s21
	s_cselect_b32 s14, s24, s20
	s_xor_b64 s[12:13], 0, s[12:13]
	s_xor_b64 s[14:15], s[14:15], s[12:13]
	s_delay_alu instid0(SALU_CYCLE_1) | instskip(SKIP_1) | instid1(SALU_CYCLE_1)
	s_sub_nc_u64 s[18:19], s[14:15], s[12:13]
	s_mov_b32 s12, s3
	s_and_not1_b32 vcc_lo, exec_lo, s12
	s_cbranch_vccnz .LBB4_3
.LBB4_2:
	v_cvt_f32_u32_e32 v1, s8
	s_sub_co_i32 s13, 0, s8
	s_mov_b32 s19, 0
	s_delay_alu instid0(VALU_DEP_1) | instskip(NEXT) | instid1(TRANS32_DEP_1)
	v_rcp_iflag_f32_e32 v1, v1
	v_mul_f32_e32 v1, 0x4f7ffffe, v1
	s_delay_alu instid0(VALU_DEP_1) | instskip(NEXT) | instid1(VALU_DEP_1)
	v_cvt_u32_f32_e32 v1, v1
	v_readfirstlane_b32 s12, v1
	s_mul_i32 s13, s13, s12
	s_delay_alu instid0(SALU_CYCLE_1) | instskip(NEXT) | instid1(SALU_CYCLE_1)
	s_mul_hi_u32 s13, s12, s13
	s_add_co_i32 s12, s12, s13
	s_delay_alu instid0(SALU_CYCLE_1) | instskip(NEXT) | instid1(SALU_CYCLE_1)
	s_mul_hi_u32 s12, s2, s12
	s_mul_i32 s13, s12, s8
	s_add_co_i32 s14, s12, 1
	s_sub_co_i32 s13, s2, s13
	s_delay_alu instid0(SALU_CYCLE_1)
	s_sub_co_i32 s15, s13, s8
	s_cmp_ge_u32 s13, s8
	s_cselect_b32 s12, s14, s12
	s_cselect_b32 s13, s15, s13
	s_add_co_i32 s14, s12, 1
	s_cmp_ge_u32 s13, s8
	s_cselect_b32 s18, s14, s12
.LBB4_3:
	s_wait_alu 0xfffe
	s_mul_u64 s[8:9], s[18:19], s[8:9]
	s_wait_alu 0xfffe
	s_sub_nc_u64 s[8:9], s[2:3], s[8:9]
	s_wait_alu 0xfffe
	s_or_b64 s[12:13], s[8:9], s[4:5]
	s_mov_b32 s12, 0
	s_delay_alu instid0(SALU_CYCLE_1)
	s_cmp_lg_u64 s[12:13], 0
	s_cbranch_scc0 .LBB4_20
; %bb.4:
	s_ashr_i32 s14, s5, 31
	s_mov_b32 s27, s12
	s_mov_b32 s15, s14
	s_mov_b32 s31, s12
	s_add_nc_u64 s[20:21], s[4:5], s[14:15]
	s_delay_alu instid0(SALU_CYCLE_1) | instskip(NEXT) | instid1(SALU_CYCLE_1)
	s_xor_b64 s[20:21], s[20:21], s[14:15]
	s_cvt_f32_u32 s13, s20
	s_cvt_f32_u32 s22, s21
	s_sub_nc_u64 s[24:25], 0, s[20:21]
	s_delay_alu instid0(SALU_CYCLE_2) | instskip(NEXT) | instid1(SALU_CYCLE_3)
	s_fmamk_f32 s13, s22, 0x4f800000, s13
	v_s_rcp_f32 s13, s13
	s_delay_alu instid0(TRANS32_DEP_1) | instskip(SKIP_1) | instid1(SALU_CYCLE_2)
	s_mul_f32 s13, s13, 0x5f7ffffc
	s_wait_alu 0xfffe
	s_mul_f32 s22, s13, 0x2f800000
	s_delay_alu instid0(SALU_CYCLE_3) | instskip(NEXT) | instid1(SALU_CYCLE_3)
	s_trunc_f32 s22, s22
	s_fmamk_f32 s13, s22, 0xcf800000, s13
	s_cvt_u32_f32 s23, s22
	s_wait_alu 0xfffe
	s_delay_alu instid0(SALU_CYCLE_1) | instskip(NEXT) | instid1(SALU_CYCLE_3)
	s_cvt_u32_f32 s22, s13
	s_mul_u64 s[28:29], s[24:25], s[22:23]
	s_delay_alu instid0(SALU_CYCLE_1)
	s_mul_hi_u32 s35, s22, s29
	s_mul_i32 s34, s22, s29
	s_mul_hi_u32 s26, s22, s28
	s_mul_i32 s30, s23, s28
	s_add_nc_u64 s[26:27], s[26:27], s[34:35]
	s_mul_hi_u32 s13, s23, s28
	s_mul_hi_u32 s33, s23, s29
	s_add_co_u32 s26, s26, s30
	s_wait_alu 0xfffe
	s_add_co_ci_u32 s30, s27, s13
	s_mul_i32 s28, s23, s29
	s_add_co_ci_u32 s29, s33, 0
	s_delay_alu instid0(SALU_CYCLE_1)
	s_add_nc_u64 s[26:27], s[30:31], s[28:29]
	s_mov_b32 s29, s12
	s_add_co_u32 s22, s22, s26
	s_cselect_b32 s13, -1, 0
	s_wait_alu 0xfffe
	s_cmp_lg_u32 s13, 0
	s_add_co_ci_u32 s23, s23, s27
	s_mov_b32 s27, s12
	s_mul_u64 s[24:25], s[24:25], s[22:23]
	s_delay_alu instid0(SALU_CYCLE_1)
	s_mul_hi_u32 s31, s22, s25
	s_mul_i32 s30, s22, s25
	s_mul_hi_u32 s26, s22, s24
	s_mul_i32 s28, s23, s24
	s_add_nc_u64 s[26:27], s[26:27], s[30:31]
	s_mul_hi_u32 s13, s23, s24
	s_mul_hi_u32 s33, s23, s25
	s_mul_i32 s24, s23, s25
	s_add_co_u32 s25, s26, s28
	s_wait_alu 0xfffe
	s_add_co_ci_u32 s28, s27, s13
	s_add_co_ci_u32 s25, s33, 0
	s_mov_b32 s27, s12
	s_add_nc_u64 s[24:25], s[28:29], s[24:25]
	s_delay_alu instid0(SALU_CYCLE_1) | instskip(SKIP_1) | instid1(SALU_CYCLE_1)
	s_add_co_u32 s13, s22, s24
	s_cselect_b32 s22, -1, 0
	s_cmp_lg_u32 s22, 0
	s_add_co_ci_u32 s28, s23, s25
	s_ashr_i32 s22, s9, 31
	s_delay_alu instid0(SALU_CYCLE_1) | instskip(NEXT) | instid1(SALU_CYCLE_1)
	s_mov_b32 s23, s22
	s_add_nc_u64 s[24:25], s[8:9], s[22:23]
	s_delay_alu instid0(SALU_CYCLE_1) | instskip(NEXT) | instid1(SALU_CYCLE_1)
	s_xor_b64 s[24:25], s[24:25], s[22:23]
	s_mul_hi_u32 s31, s24, s28
	s_mul_i32 s30, s24, s28
	s_wait_alu 0xfffe
	s_mul_hi_u32 s26, s24, s13
	s_mul_hi_u32 s34, s25, s13
	s_mul_i32 s13, s25, s13
	s_add_nc_u64 s[26:27], s[26:27], s[30:31]
	s_mul_hi_u32 s33, s25, s28
	s_wait_alu 0xfffe
	s_add_co_u32 s13, s26, s13
	s_mul_i32 s30, s25, s28
	s_add_co_ci_u32 s28, s27, s34
	s_add_co_ci_u32 s31, s33, 0
	s_delay_alu instid0(SALU_CYCLE_1) | instskip(NEXT) | instid1(SALU_CYCLE_1)
	s_add_nc_u64 s[26:27], s[28:29], s[30:31]
	s_mul_u64 s[28:29], s[20:21], s[26:27]
	s_delay_alu instid0(SALU_CYCLE_1)
	s_sub_co_u32 s13, s24, s28
	s_cselect_b32 s24, -1, 0
	s_sub_co_i32 s28, s25, s29
	s_cmp_lg_u32 s24, 0
	s_sub_co_ci_u32 s28, s28, s21
	s_wait_alu 0xfffe
	s_sub_co_u32 s30, s13, s20
	s_cselect_b32 s31, -1, 0
	s_delay_alu instid0(SALU_CYCLE_1) | instskip(SKIP_1) | instid1(SALU_CYCLE_1)
	s_cmp_lg_u32 s31, 0
	s_sub_co_ci_u32 s28, s28, 0
	s_cmp_ge_u32 s28, s21
	s_cselect_b32 s33, -1, 0
	s_cmp_ge_u32 s30, s20
	s_add_nc_u64 s[30:31], s[26:27], 1
	s_cselect_b32 s34, -1, 0
	s_cmp_eq_u32 s28, s21
	s_cselect_b32 s28, s34, s33
	s_add_nc_u64 s[34:35], s[26:27], 2
	s_cmp_lg_u32 s28, 0
	s_cselect_b32 s28, s34, s30
	s_cselect_b32 s30, s35, s31
	s_cmp_lg_u32 s24, 0
	s_sub_co_ci_u32 s24, s25, s29
	s_delay_alu instid0(SALU_CYCLE_1)
	s_cmp_ge_u32 s24, s21
	s_cselect_b32 s25, -1, 0
	s_cmp_ge_u32 s13, s20
	s_cselect_b32 s13, -1, 0
	s_cmp_eq_u32 s24, s21
	s_wait_alu 0xfffe
	s_cselect_b32 s13, s13, s25
	s_wait_alu 0xfffe
	s_cmp_lg_u32 s13, 0
	s_cselect_b32 s21, s30, s27
	s_cselect_b32 s20, s28, s26
	s_xor_b64 s[14:15], s[22:23], s[14:15]
	s_delay_alu instid0(SALU_CYCLE_1) | instskip(NEXT) | instid1(SALU_CYCLE_1)
	s_xor_b64 s[20:21], s[20:21], s[14:15]
	s_sub_nc_u64 s[20:21], s[20:21], s[14:15]
	s_and_not1_b32 vcc_lo, exec_lo, s12
	s_cbranch_vccnz .LBB4_6
.LBB4_5:
	v_cvt_f32_u32_e32 v1, s4
	s_sub_co_i32 s13, 0, s4
	s_mov_b32 s21, 0
	s_delay_alu instid0(VALU_DEP_1) | instskip(NEXT) | instid1(TRANS32_DEP_1)
	v_rcp_iflag_f32_e32 v1, v1
	v_mul_f32_e32 v1, 0x4f7ffffe, v1
	s_delay_alu instid0(VALU_DEP_1) | instskip(NEXT) | instid1(VALU_DEP_1)
	v_cvt_u32_f32_e32 v1, v1
	v_readfirstlane_b32 s12, v1
	s_wait_alu 0xfffe
	s_mul_i32 s13, s13, s12
	s_wait_alu 0xfffe
	s_mul_hi_u32 s13, s12, s13
	s_wait_alu 0xfffe
	s_add_co_i32 s12, s12, s13
	s_wait_alu 0xfffe
	s_mul_hi_u32 s12, s8, s12
	s_wait_alu 0xfffe
	s_mul_i32 s13, s12, s4
	s_add_co_i32 s14, s12, 1
	s_wait_alu 0xfffe
	s_sub_co_i32 s13, s8, s13
	s_wait_alu 0xfffe
	s_sub_co_i32 s15, s13, s4
	s_cmp_ge_u32 s13, s4
	s_cselect_b32 s12, s14, s12
	s_cselect_b32 s13, s15, s13
	s_wait_alu 0xfffe
	s_add_co_i32 s14, s12, 1
	s_cmp_ge_u32 s13, s4
	s_cselect_b32 s20, s14, s12
.LBB4_6:
	s_clause 0x2
	s_load_b128 s[12:15], s[0:1], 0x0
	s_load_b64 s[22:23], s[0:1], 0x10
	s_load_b32 s24, s[0:1], 0x54
	v_dual_mov_b32 v1, 0 :: v_dual_mov_b32 v2, 0
	v_mov_b32_e32 v3, 0
	s_mov_b32 s25, exec_lo
	s_delay_alu instid0(VALU_DEP_2)
	v_cmpx_gt_i64_e64 s[6:7], v[0:1]
	s_cbranch_execz .LBB4_10
; %bb.7:
	s_mul_u64 s[0:1], s[18:19], s[10:11]
	s_mul_u64 s[10:11], s[20:21], s[6:7]
	s_lshl_b64 s[0:1], s[0:1], 3
	v_lshlrev_b32_e32 v6, 3, v0
	s_lshl_b64 s[10:11], s[10:11], 3
	s_wait_kmcnt 0x0
	s_add_nc_u64 s[0:1], s[14:15], s[0:1]
	v_mov_b32_e32 v2, 0
	s_add_nc_u64 s[10:11], s[0:1], s[10:11]
	v_mov_b32_e32 v3, 0
	v_add_co_u32 v4, s0, s10, v6
	s_delay_alu instid0(VALU_DEP_1)
	v_add_co_ci_u32_e64 v5, null, s11, 0, s0
	s_mul_u64 s[0:1], s[20:21], s[4:5]
	s_mul_u64 s[4:5], s[18:19], s[16:17]
	s_wait_alu 0xfffe
	s_sub_nc_u64 s[0:1], s[8:9], s[0:1]
	s_lshl_b64 s[4:5], s[4:5], 3
	s_wait_alu 0xfffe
	s_mul_u64 s[0:1], s[0:1], s[6:7]
	s_lshl_b64 s[14:15], s[6:7], 3
	s_add_nc_u64 s[4:5], s[22:23], s[4:5]
	s_wait_alu 0xfffe
	s_lshl_b64 s[0:1], s[0:1], 3
	s_and_b32 s7, s24, 0xffff
	s_add_nc_u64 s[14:15], s[10:11], s[14:15]
	s_mov_b32 s26, 0
	s_wait_alu 0xfffe
	s_add_nc_u64 s[4:5], s[4:5], s[0:1]
	s_lshl_b32 s6, s7, 3
	s_lshl_b32 s7, s7, 3
.LBB4_8:                                ; =>This Inner Loop Header: Depth=1
	v_add_co_u32 v7, vcc_lo, s10, v6
	s_wait_alu 0xfffd
	v_add_co_ci_u32_e64 v8, null, s11, v1, vcc_lo
	s_wait_alu 0xfffe
	v_add_co_u32 v9, vcc_lo, s4, v6
	s_wait_alu 0xfffd
	v_add_co_ci_u32_e64 v10, null, s5, v1, vcc_lo
	global_load_b64 v[7:8], v[7:8], off
	global_load_b64 v[9:10], v[9:10], off
	v_add_co_u32 v4, s0, v4, s7
	s_wait_alu 0xf1ff
	v_add_co_ci_u32_e64 v5, null, 0, v5, s0
	v_add_co_u32 v6, s0, v6, s6
	s_wait_alu 0xf1ff
	v_add_co_ci_u32_e64 v1, null, 0, v1, s0
	s_delay_alu instid0(VALU_DEP_3) | instskip(SKIP_3) | instid1(VALU_DEP_1)
	v_cmp_le_u64_e64 s1, s[14:15], v[4:5]
	s_or_b32 s26, s1, s26
	s_wait_loadcnt 0x0
	v_add_f64_e64 v[7:8], v[7:8], -v[9:10]
	v_cmp_gt_f64_e64 vcc_lo, |v[7:8]|, v[2:3]
	s_wait_alu 0xfffd
	v_dual_cndmask_b32 v2, v2, v7 :: v_dual_and_b32 v9, 0x7fffffff, v8
	s_delay_alu instid0(VALU_DEP_1)
	v_cndmask_b32_e32 v3, v3, v9, vcc_lo
	s_and_not1_b32 exec_lo, exec_lo, s26
	s_cbranch_execnz .LBB4_8
; %bb.9:
	s_or_b32 exec_lo, exec_lo, s26
.LBB4_10:
	s_delay_alu instid0(SALU_CYCLE_1)
	s_or_b32 exec_lo, exec_lo, s25
	v_mbcnt_lo_u32_b32 v11, -1, 0
	s_barrier_signal -1
	s_barrier_wait -1
	global_inv scope:SCOPE_SE
	v_lshl_or_b32 v5, v11, 2, 64
	v_cmp_gt_u32_e64 s0, 24, v11
	ds_bpermute_b32 v7, v5, v2
	ds_bpermute_b32 v8, v5, v3
	s_wait_alu 0xf1ff
	v_cndmask_b32_e64 v1, 0, 8, s0
	v_cmp_gt_u32_e64 s0, 28, v11
	s_delay_alu instid0(VALU_DEP_2) | instskip(SKIP_1) | instid1(VALU_DEP_2)
	v_add_lshl_u32 v6, v1, v11, 2
	s_wait_alu 0xf1ff
	v_cndmask_b32_e64 v1, 0, 4, s0
	v_cmp_gt_u32_e64 s0, 30, v11
	s_wait_dscnt 0x0
	v_cmp_lt_f64_e32 vcc_lo, v[2:3], v[7:8]
	s_wait_alu 0xfffd
	v_dual_cndmask_b32 v3, v3, v8 :: v_dual_cndmask_b32 v2, v2, v7
	v_add_lshl_u32 v7, v1, v11, 2
	s_wait_alu 0xf1ff
	v_cndmask_b32_e64 v1, 0, 2, s0
	v_cmp_ne_u32_e64 s0, 31, v11
	ds_bpermute_b32 v9, v6, v3
	ds_bpermute_b32 v8, v6, v2
	s_wait_dscnt 0x0
	v_cmp_lt_f64_e32 vcc_lo, v[2:3], v[8:9]
	s_wait_alu 0xfffd
	v_dual_cndmask_b32 v3, v3, v9 :: v_dual_cndmask_b32 v2, v2, v8
	v_add_lshl_u32 v8, v1, v11, 2
	ds_bpermute_b32 v10, v7, v3
	ds_bpermute_b32 v9, v7, v2
	s_wait_dscnt 0x0
	v_cmp_lt_f64_e32 vcc_lo, v[2:3], v[9:10]
	s_wait_alu 0xfffd
	v_dual_cndmask_b32 v4, v3, v10 :: v_dual_cndmask_b32 v3, v2, v9
	s_wait_alu 0xf1ff
	v_add_co_ci_u32_e64 v9, null, 0, v11, s0
	s_mov_b32 s0, exec_lo
	ds_bpermute_b32 v2, v8, v4
	ds_bpermute_b32 v1, v8, v3
	v_and_b32_e32 v10, 31, v0
	s_wait_dscnt 0x0
	v_cmp_lt_f64_e32 vcc_lo, v[3:4], v[1:2]
	s_wait_alu 0xfffd
	v_dual_cndmask_b32 v2, v4, v2 :: v_dual_lshlrev_b32 v9, 2, v9
	v_cndmask_b32_e32 v1, v3, v1, vcc_lo
	ds_bpermute_b32 v11, v9, v2
	ds_bpermute_b32 v3, v9, v1
	v_cmpx_eq_u32_e32 0, v10
	s_cbranch_execz .LBB4_12
; %bb.11:
	s_wait_dscnt 0x1
	v_mov_b32_e32 v4, v11
	s_wait_dscnt 0x0
	s_delay_alu instid0(VALU_DEP_1)
	v_cmp_lt_f64_e32 vcc_lo, v[1:2], v[3:4]
	v_lshrrev_b32_e32 v4, 2, v0
	s_wait_alu 0xfffd
	v_cndmask_b32_e32 v2, v2, v11, vcc_lo
	v_cndmask_b32_e32 v1, v1, v3, vcc_lo
	ds_store_b64 v4, v[1:2]
.LBB4_12:
	s_wait_alu 0xfffe
	s_or_b32 exec_lo, exec_lo, s0
	s_wait_kmcnt 0x0
	s_and_b32 s0, 0xffff, s24
	v_mov_b32_e32 v1, 0
	s_wait_alu 0xfffe
	s_lshr_b32 s0, s0, 5
	v_mov_b32_e32 v2, 0
	s_wait_alu 0xfffe
	v_cmp_gt_u32_e32 vcc_lo, s0, v0
	s_wait_loadcnt_dscnt 0x0
	s_barrier_signal -1
	s_barrier_wait -1
	global_inv scope:SCOPE_SE
	s_and_saveexec_b32 s0, vcc_lo
; %bb.13:
	v_lshlrev_b32_e32 v1, 3, v10
	ds_load_b64 v[1:2], v1
; %bb.14:
	s_wait_alu 0xfffe
	s_or_b32 exec_lo, exec_lo, s0
	s_delay_alu instid0(SALU_CYCLE_1)
	s_mov_b32 s0, exec_lo
	v_cmpx_gt_u32_e32 32, v0
	s_cbranch_execz .LBB4_16
; %bb.15:
	s_wait_dscnt 0x0
	ds_bpermute_b32 v10, v5, v2
	ds_bpermute_b32 v3, v5, v1
	s_wait_dscnt 0x1
	v_mov_b32_e32 v4, v10
	s_wait_dscnt 0x0
	s_delay_alu instid0(VALU_DEP_1)
	v_cmp_lt_f64_e32 vcc_lo, v[1:2], v[3:4]
	s_wait_alu 0xfffd
	v_cndmask_b32_e32 v1, v1, v3, vcc_lo
	ds_bpermute_b32 v3, v6, v1
	v_cndmask_b32_e32 v2, v2, v10, vcc_lo
	ds_bpermute_b32 v5, v6, v2
	s_wait_dscnt 0x0
	v_mov_b32_e32 v4, v5
	s_delay_alu instid0(VALU_DEP_1)
	v_cmp_lt_f64_e32 vcc_lo, v[1:2], v[3:4]
	s_wait_alu 0xfffd
	v_cndmask_b32_e32 v1, v1, v3, vcc_lo
	ds_bpermute_b32 v3, v7, v1
	v_cndmask_b32_e32 v2, v2, v5, vcc_lo
	ds_bpermute_b32 v5, v7, v2
	s_wait_dscnt 0x0
	v_mov_b32_e32 v4, v5
	;; [unrolled: 9-line block ×4, first 2 shown]
	s_delay_alu instid0(VALU_DEP_1)
	v_cmp_lt_f64_e32 vcc_lo, v[1:2], v[3:4]
	s_wait_alu 0xfffd
	v_dual_cndmask_b32 v1, v1, v3 :: v_dual_cndmask_b32 v2, v2, v5
.LBB4_16:
	s_wait_alu 0xfffe
	s_or_b32 exec_lo, exec_lo, s0
	s_delay_alu instid0(SALU_CYCLE_1)
	s_mov_b32 s0, exec_lo
	v_cmpx_eq_u32_e32 0, v0
	s_cbranch_execz .LBB4_18
; %bb.17:
	v_mov_b32_e32 v0, 0
	s_lshl_b64 s[0:1], s[2:3], 3
	s_wait_alu 0xfffe
	s_add_nc_u64 s[0:1], s[12:13], s[0:1]
	s_wait_dscnt 0x0
	global_store_b64 v0, v[1:2], s[0:1]
.LBB4_18:
	s_endpgm
.LBB4_19:
                                        ; implicit-def: $sgpr18_sgpr19
	s_branch .LBB4_2
.LBB4_20:
                                        ; implicit-def: $sgpr20_sgpr21
	s_branch .LBB4_5
	.section	.rodata,"a",@progbits
	.p2align	6, 0x0
	.amdhsa_kernel _ZN2at6native12_GLOBAL__N_122cdist_kernel_cuda_implIdNS1_5distsIdE3infEEEvPT_PKS6_S9_S6_lllll
		.amdhsa_group_segment_fixed_size 2048
		.amdhsa_private_segment_fixed_size 0
		.amdhsa_kernarg_size 328
		.amdhsa_user_sgpr_count 2
		.amdhsa_user_sgpr_dispatch_ptr 0
		.amdhsa_user_sgpr_queue_ptr 0
		.amdhsa_user_sgpr_kernarg_segment_ptr 1
		.amdhsa_user_sgpr_dispatch_id 0
		.amdhsa_user_sgpr_private_segment_size 0
		.amdhsa_wavefront_size32 1
		.amdhsa_uses_dynamic_stack 0
		.amdhsa_enable_private_segment 0
		.amdhsa_system_sgpr_workgroup_id_x 1
		.amdhsa_system_sgpr_workgroup_id_y 0
		.amdhsa_system_sgpr_workgroup_id_z 0
		.amdhsa_system_sgpr_workgroup_info 0
		.amdhsa_system_vgpr_workitem_id 0
		.amdhsa_next_free_vgpr 12
		.amdhsa_next_free_sgpr 36
		.amdhsa_reserve_vcc 1
		.amdhsa_float_round_mode_32 0
		.amdhsa_float_round_mode_16_64 0
		.amdhsa_float_denorm_mode_32 3
		.amdhsa_float_denorm_mode_16_64 3
		.amdhsa_fp16_overflow 0
		.amdhsa_workgroup_processor_mode 1
		.amdhsa_memory_ordered 1
		.amdhsa_forward_progress 1
		.amdhsa_inst_pref_size 21
		.amdhsa_round_robin_scheduling 0
		.amdhsa_exception_fp_ieee_invalid_op 0
		.amdhsa_exception_fp_denorm_src 0
		.amdhsa_exception_fp_ieee_div_zero 0
		.amdhsa_exception_fp_ieee_overflow 0
		.amdhsa_exception_fp_ieee_underflow 0
		.amdhsa_exception_fp_ieee_inexact 0
		.amdhsa_exception_int_div_zero 0
	.end_amdhsa_kernel
	.section	.text._ZN2at6native12_GLOBAL__N_122cdist_kernel_cuda_implIdNS1_5distsIdE3infEEEvPT_PKS6_S9_S6_lllll,"axG",@progbits,_ZN2at6native12_GLOBAL__N_122cdist_kernel_cuda_implIdNS1_5distsIdE3infEEEvPT_PKS6_S9_S6_lllll,comdat
.Lfunc_end4:
	.size	_ZN2at6native12_GLOBAL__N_122cdist_kernel_cuda_implIdNS1_5distsIdE3infEEEvPT_PKS6_S9_S6_lllll, .Lfunc_end4-_ZN2at6native12_GLOBAL__N_122cdist_kernel_cuda_implIdNS1_5distsIdE3infEEEvPT_PKS6_S9_S6_lllll
                                        ; -- End function
	.set _ZN2at6native12_GLOBAL__N_122cdist_kernel_cuda_implIdNS1_5distsIdE3infEEEvPT_PKS6_S9_S6_lllll.num_vgpr, 12
	.set _ZN2at6native12_GLOBAL__N_122cdist_kernel_cuda_implIdNS1_5distsIdE3infEEEvPT_PKS6_S9_S6_lllll.num_agpr, 0
	.set _ZN2at6native12_GLOBAL__N_122cdist_kernel_cuda_implIdNS1_5distsIdE3infEEEvPT_PKS6_S9_S6_lllll.numbered_sgpr, 36
	.set _ZN2at6native12_GLOBAL__N_122cdist_kernel_cuda_implIdNS1_5distsIdE3infEEEvPT_PKS6_S9_S6_lllll.num_named_barrier, 0
	.set _ZN2at6native12_GLOBAL__N_122cdist_kernel_cuda_implIdNS1_5distsIdE3infEEEvPT_PKS6_S9_S6_lllll.private_seg_size, 0
	.set _ZN2at6native12_GLOBAL__N_122cdist_kernel_cuda_implIdNS1_5distsIdE3infEEEvPT_PKS6_S9_S6_lllll.uses_vcc, 1
	.set _ZN2at6native12_GLOBAL__N_122cdist_kernel_cuda_implIdNS1_5distsIdE3infEEEvPT_PKS6_S9_S6_lllll.uses_flat_scratch, 0
	.set _ZN2at6native12_GLOBAL__N_122cdist_kernel_cuda_implIdNS1_5distsIdE3infEEEvPT_PKS6_S9_S6_lllll.has_dyn_sized_stack, 0
	.set _ZN2at6native12_GLOBAL__N_122cdist_kernel_cuda_implIdNS1_5distsIdE3infEEEvPT_PKS6_S9_S6_lllll.has_recursion, 0
	.set _ZN2at6native12_GLOBAL__N_122cdist_kernel_cuda_implIdNS1_5distsIdE3infEEEvPT_PKS6_S9_S6_lllll.has_indirect_call, 0
	.section	.AMDGPU.csdata,"",@progbits
; Kernel info:
; codeLenInByte = 2576
; TotalNumSgprs: 38
; NumVgprs: 12
; ScratchSize: 0
; MemoryBound: 0
; FloatMode: 240
; IeeeMode: 1
; LDSByteSize: 2048 bytes/workgroup (compile time only)
; SGPRBlocks: 0
; VGPRBlocks: 1
; NumSGPRsForWavesPerEU: 38
; NumVGPRsForWavesPerEU: 12
; Occupancy: 16
; WaveLimiterHint : 0
; COMPUTE_PGM_RSRC2:SCRATCH_EN: 0
; COMPUTE_PGM_RSRC2:USER_SGPR: 2
; COMPUTE_PGM_RSRC2:TRAP_HANDLER: 0
; COMPUTE_PGM_RSRC2:TGID_X_EN: 1
; COMPUTE_PGM_RSRC2:TGID_Y_EN: 0
; COMPUTE_PGM_RSRC2:TGID_Z_EN: 0
; COMPUTE_PGM_RSRC2:TIDIG_COMP_CNT: 0
	.section	.text._ZN2at6native12_GLOBAL__N_122cdist_kernel_cuda_implIfNS1_5distsIfE1pEEEvPT_PKS6_S9_S6_lllll,"axG",@progbits,_ZN2at6native12_GLOBAL__N_122cdist_kernel_cuda_implIfNS1_5distsIfE1pEEEvPT_PKS6_S9_S6_lllll,comdat
	.globl	_ZN2at6native12_GLOBAL__N_122cdist_kernel_cuda_implIfNS1_5distsIfE1pEEEvPT_PKS6_S9_S6_lllll ; -- Begin function _ZN2at6native12_GLOBAL__N_122cdist_kernel_cuda_implIfNS1_5distsIfE1pEEEvPT_PKS6_S9_S6_lllll
	.p2align	8
	.type	_ZN2at6native12_GLOBAL__N_122cdist_kernel_cuda_implIfNS1_5distsIfE1pEEEvPT_PKS6_S9_S6_lllll,@function
_ZN2at6native12_GLOBAL__N_122cdist_kernel_cuda_implIfNS1_5distsIfE1pEEEvPT_PKS6_S9_S6_lllll: ; @_ZN2at6native12_GLOBAL__N_122cdist_kernel_cuda_implIfNS1_5distsIfE1pEEEvPT_PKS6_S9_S6_lllll
; %bb.0:
	s_clause 0x1
	s_load_b256 s[4:11], s[0:1], 0x20
	s_load_b64 s[2:3], s[0:1], 0x40
	s_mov_b32 s21, 0
	s_mov_b32 s20, ttmp9
	s_mov_b32 s12, s21
	s_wait_kmcnt 0x0
	s_mov_b32 s13, s9
	s_delay_alu instid0(SALU_CYCLE_1)
	s_cmp_lg_u64 s[12:13], 0
	s_cbranch_scc0 .LBB5_19
; %bb.1:
	s_ashr_i32 s12, s9, 31
	s_mov_b32 s23, s21
	s_mov_b32 s13, s12
	;; [unrolled: 1-line block ×3, first 2 shown]
	s_add_nc_u64 s[14:15], s[8:9], s[12:13]
	s_delay_alu instid0(SALU_CYCLE_1) | instskip(NEXT) | instid1(SALU_CYCLE_1)
	s_xor_b64 s[14:15], s[14:15], s[12:13]
	s_cvt_f32_u32 s16, s14
	s_cvt_f32_u32 s17, s15
	s_sub_nc_u64 s[18:19], 0, s[14:15]
	s_delay_alu instid0(SALU_CYCLE_2) | instskip(NEXT) | instid1(SALU_CYCLE_3)
	s_fmamk_f32 s16, s17, 0x4f800000, s16
	v_s_rcp_f32 s16, s16
	s_delay_alu instid0(TRANS32_DEP_1) | instskip(SKIP_1) | instid1(SALU_CYCLE_2)
	s_mul_f32 s16, s16, 0x5f7ffffc
	s_wait_alu 0xfffe
	s_mul_f32 s17, s16, 0x2f800000
	s_wait_alu 0xfffe
	s_delay_alu instid0(SALU_CYCLE_2) | instskip(SKIP_1) | instid1(SALU_CYCLE_2)
	s_trunc_f32 s17, s17
	s_wait_alu 0xfffe
	s_fmamk_f32 s16, s17, 0xcf800000, s16
	s_cvt_u32_f32 s17, s17
	s_wait_alu 0xfffe
	s_delay_alu instid0(SALU_CYCLE_1) | instskip(SKIP_1) | instid1(SALU_CYCLE_2)
	s_cvt_u32_f32 s16, s16
	s_wait_alu 0xfffe
	s_mul_u64 s[24:25], s[18:19], s[16:17]
	s_delay_alu instid0(SALU_CYCLE_1)
	s_mul_hi_u32 s29, s16, s25
	s_mul_i32 s28, s16, s25
	s_mul_hi_u32 s22, s16, s24
	s_mul_i32 s30, s17, s24
	s_add_nc_u64 s[22:23], s[22:23], s[28:29]
	s_mul_hi_u32 s26, s17, s24
	s_mul_hi_u32 s31, s17, s25
	s_add_co_u32 s22, s22, s30
	s_add_co_ci_u32 s26, s23, s26
	s_mul_i32 s24, s17, s25
	s_add_co_ci_u32 s25, s31, 0
	s_delay_alu instid0(SALU_CYCLE_1) | instskip(SKIP_3) | instid1(SALU_CYCLE_1)
	s_add_nc_u64 s[22:23], s[26:27], s[24:25]
	s_mov_b32 s25, s21
	s_add_co_u32 s16, s16, s22
	s_cselect_b32 s22, -1, 0
	s_cmp_lg_u32 s22, 0
	s_add_co_ci_u32 s17, s17, s23
	s_mov_b32 s23, s21
	s_wait_alu 0xfffe
	s_mul_u64 s[18:19], s[18:19], s[16:17]
	s_delay_alu instid0(SALU_CYCLE_1)
	s_mul_hi_u32 s27, s16, s19
	s_mul_i32 s26, s16, s19
	s_mul_hi_u32 s22, s16, s18
	s_mul_i32 s28, s17, s18
	s_add_nc_u64 s[22:23], s[22:23], s[26:27]
	s_mul_hi_u32 s24, s17, s18
	s_mul_hi_u32 s29, s17, s19
	s_mul_i32 s18, s17, s19
	s_add_co_u32 s19, s22, s28
	s_add_co_ci_u32 s24, s23, s24
	s_add_co_ci_u32 s19, s29, 0
	s_add_nc_u64 s[22:23], s[20:21], 0
	s_add_nc_u64 s[18:19], s[24:25], s[18:19]
	s_delay_alu instid0(SALU_CYCLE_1)
	s_add_co_u32 s18, s16, s18
	s_cselect_b32 s16, -1, 0
	s_wait_alu 0xfffe
	s_cmp_lg_u32 s16, 0
	s_add_co_ci_u32 s26, s17, s19
	s_xor_b64 s[16:17], s[22:23], 0
	s_mov_b32 s19, s21
	s_wait_alu 0xfffe
	s_mul_hi_u32 s23, s16, s26
	s_mul_i32 s22, s16, s26
	s_mul_hi_u32 s24, s16, s18
	s_mul_hi_u32 s28, s17, s18
	s_mul_i32 s18, s17, s18
	s_add_nc_u64 s[22:23], s[24:25], s[22:23]
	s_mul_hi_u32 s27, s17, s26
	s_add_co_u32 s18, s22, s18
	s_add_co_ci_u32 s18, s23, s28
	s_mul_i32 s24, s17, s26
	s_add_co_ci_u32 s25, s27, 0
	s_delay_alu instid0(SALU_CYCLE_1) | instskip(NEXT) | instid1(SALU_CYCLE_1)
	s_add_nc_u64 s[18:19], s[18:19], s[24:25]
	s_mul_u64 s[22:23], s[14:15], s[18:19]
	s_delay_alu instid0(SALU_CYCLE_1)
	s_sub_co_u32 s16, s16, s22
	s_cselect_b32 s22, -1, 0
	s_sub_co_i32 s24, s17, s23
	s_cmp_lg_u32 s22, 0
	s_sub_co_ci_u32 s24, s24, s15
	s_wait_alu 0xfffe
	s_sub_co_u32 s25, s16, s14
	s_cselect_b32 s26, -1, 0
	s_delay_alu instid0(SALU_CYCLE_1) | instskip(SKIP_1) | instid1(SALU_CYCLE_1)
	s_cmp_lg_u32 s26, 0
	s_sub_co_ci_u32 s24, s24, 0
	s_cmp_ge_u32 s24, s15
	s_cselect_b32 s26, -1, 0
	s_cmp_ge_u32 s25, s14
	s_cselect_b32 s27, -1, 0
	s_cmp_eq_u32 s24, s15
	s_add_nc_u64 s[24:25], s[18:19], 1
	s_cselect_b32 s28, s27, s26
	s_add_nc_u64 s[26:27], s[18:19], 2
	s_cmp_lg_u32 s28, 0
	s_cselect_b32 s24, s26, s24
	s_cselect_b32 s25, s27, s25
	s_cmp_lg_u32 s22, 0
	s_sub_co_ci_u32 s17, s17, s23
	s_wait_alu 0xfffe
	s_cmp_ge_u32 s17, s15
	s_cselect_b32 s22, -1, 0
	s_cmp_ge_u32 s16, s14
	s_cselect_b32 s14, -1, 0
	s_cmp_eq_u32 s17, s15
	s_cselect_b32 s14, s14, s22
	s_delay_alu instid0(SALU_CYCLE_1) | instskip(SKIP_3) | instid1(SALU_CYCLE_1)
	s_cmp_lg_u32 s14, 0
	s_cselect_b32 s15, s25, s19
	s_cselect_b32 s14, s24, s18
	s_xor_b64 s[12:13], 0, s[12:13]
	s_xor_b64 s[14:15], s[14:15], s[12:13]
	s_delay_alu instid0(SALU_CYCLE_1) | instskip(SKIP_1) | instid1(SALU_CYCLE_1)
	s_sub_nc_u64 s[22:23], s[14:15], s[12:13]
	s_mov_b32 s12, s21
	s_and_not1_b32 vcc_lo, exec_lo, s12
	s_cbranch_vccnz .LBB5_3
.LBB5_2:
	v_cvt_f32_u32_e32 v1, s8
	s_sub_co_i32 s13, 0, s8
	s_mov_b32 s23, 0
	s_delay_alu instid0(VALU_DEP_1) | instskip(NEXT) | instid1(TRANS32_DEP_1)
	v_rcp_iflag_f32_e32 v1, v1
	v_mul_f32_e32 v1, 0x4f7ffffe, v1
	s_delay_alu instid0(VALU_DEP_1) | instskip(NEXT) | instid1(VALU_DEP_1)
	v_cvt_u32_f32_e32 v1, v1
	v_readfirstlane_b32 s12, v1
	s_mul_i32 s13, s13, s12
	s_delay_alu instid0(SALU_CYCLE_1) | instskip(NEXT) | instid1(SALU_CYCLE_1)
	s_mul_hi_u32 s13, s12, s13
	s_add_co_i32 s12, s12, s13
	s_delay_alu instid0(SALU_CYCLE_1) | instskip(NEXT) | instid1(SALU_CYCLE_1)
	s_mul_hi_u32 s12, s20, s12
	s_mul_i32 s13, s12, s8
	s_add_co_i32 s14, s12, 1
	s_sub_co_i32 s13, s20, s13
	s_delay_alu instid0(SALU_CYCLE_1)
	s_sub_co_i32 s15, s13, s8
	s_cmp_ge_u32 s13, s8
	s_cselect_b32 s12, s14, s12
	s_cselect_b32 s13, s15, s13
	s_add_co_i32 s14, s12, 1
	s_cmp_ge_u32 s13, s8
	s_cselect_b32 s22, s14, s12
.LBB5_3:
	s_delay_alu instid0(SALU_CYCLE_1) | instskip(SKIP_2) | instid1(SALU_CYCLE_1)
	s_mul_u64 s[8:9], s[22:23], s[8:9]
	s_wait_alu 0xfffe
	s_sub_nc_u64 s[24:25], s[20:21], s[8:9]
	s_or_b64 s[8:9], s[24:25], s[4:5]
	s_mov_b32 s8, 0
	s_wait_alu 0xfffe
	s_cmp_lg_u64 s[8:9], 0
	s_cbranch_scc0 .LBB5_20
; %bb.4:
	s_ashr_i32 s12, s5, 31
	s_mov_b32 s27, s8
	s_mov_b32 s13, s12
	;; [unrolled: 1-line block ×3, first 2 shown]
	s_add_nc_u64 s[14:15], s[4:5], s[12:13]
	s_delay_alu instid0(SALU_CYCLE_1) | instskip(NEXT) | instid1(SALU_CYCLE_1)
	s_xor_b64 s[14:15], s[14:15], s[12:13]
	s_cvt_f32_u32 s9, s14
	s_cvt_f32_u32 s16, s15
	s_sub_nc_u64 s[18:19], 0, s[14:15]
	s_wait_alu 0xfffe
	s_delay_alu instid0(SALU_CYCLE_1) | instskip(SKIP_1) | instid1(SALU_CYCLE_2)
	s_fmamk_f32 s9, s16, 0x4f800000, s9
	s_wait_alu 0xfffe
	v_s_rcp_f32 s9, s9
	s_delay_alu instid0(TRANS32_DEP_1) | instskip(SKIP_1) | instid1(SALU_CYCLE_2)
	s_mul_f32 s9, s9, 0x5f7ffffc
	s_wait_alu 0xfffe
	s_mul_f32 s16, s9, 0x2f800000
	s_wait_alu 0xfffe
	s_delay_alu instid0(SALU_CYCLE_2) | instskip(SKIP_1) | instid1(SALU_CYCLE_2)
	s_trunc_f32 s16, s16
	s_wait_alu 0xfffe
	s_fmamk_f32 s9, s16, 0xcf800000, s9
	s_cvt_u32_f32 s17, s16
	s_wait_alu 0xfffe
	s_delay_alu instid0(SALU_CYCLE_1) | instskip(SKIP_1) | instid1(SALU_CYCLE_2)
	s_cvt_u32_f32 s16, s9
	s_wait_alu 0xfffe
	s_mul_u64 s[28:29], s[18:19], s[16:17]
	s_delay_alu instid0(SALU_CYCLE_1)
	s_mul_hi_u32 s35, s16, s29
	s_mul_i32 s34, s16, s29
	s_mul_hi_u32 s26, s16, s28
	s_mul_i32 s30, s17, s28
	s_add_nc_u64 s[26:27], s[26:27], s[34:35]
	s_mul_hi_u32 s9, s17, s28
	s_mul_hi_u32 s33, s17, s29
	s_add_co_u32 s26, s26, s30
	s_wait_alu 0xfffe
	s_add_co_ci_u32 s30, s27, s9
	s_mul_i32 s28, s17, s29
	s_add_co_ci_u32 s29, s33, 0
	s_delay_alu instid0(SALU_CYCLE_1)
	s_add_nc_u64 s[26:27], s[30:31], s[28:29]
	s_mov_b32 s29, s8
	s_add_co_u32 s16, s16, s26
	s_cselect_b32 s9, -1, 0
	s_wait_alu 0xfffe
	s_cmp_lg_u32 s9, 0
	s_add_co_ci_u32 s17, s17, s27
	s_mov_b32 s27, s8
	s_wait_alu 0xfffe
	s_mul_u64 s[18:19], s[18:19], s[16:17]
	s_delay_alu instid0(SALU_CYCLE_1)
	s_mul_hi_u32 s31, s16, s19
	s_mul_i32 s30, s16, s19
	s_mul_hi_u32 s26, s16, s18
	s_mul_i32 s28, s17, s18
	s_add_nc_u64 s[26:27], s[26:27], s[30:31]
	s_mul_hi_u32 s9, s17, s18
	s_mul_hi_u32 s33, s17, s19
	s_mul_i32 s18, s17, s19
	s_add_co_u32 s19, s26, s28
	s_wait_alu 0xfffe
	s_add_co_ci_u32 s28, s27, s9
	s_add_co_ci_u32 s19, s33, 0
	s_mov_b32 s27, s8
	s_add_nc_u64 s[18:19], s[28:29], s[18:19]
	s_delay_alu instid0(SALU_CYCLE_1)
	s_add_co_u32 s9, s16, s18
	s_cselect_b32 s16, -1, 0
	s_wait_alu 0xfffe
	s_cmp_lg_u32 s16, 0
	s_add_co_ci_u32 s28, s17, s19
	s_ashr_i32 s16, s25, 31
	s_wait_alu 0xfffe
	s_mov_b32 s17, s16
	s_wait_alu 0xfffe
	s_add_nc_u64 s[18:19], s[24:25], s[16:17]
	s_delay_alu instid0(SALU_CYCLE_1) | instskip(NEXT) | instid1(SALU_CYCLE_1)
	s_xor_b64 s[18:19], s[18:19], s[16:17]
	s_mul_hi_u32 s31, s18, s28
	s_mul_i32 s30, s18, s28
	s_mul_hi_u32 s26, s18, s9
	s_mul_hi_u32 s34, s19, s9
	s_mul_i32 s9, s19, s9
	s_add_nc_u64 s[26:27], s[26:27], s[30:31]
	s_mul_hi_u32 s33, s19, s28
	s_wait_alu 0xfffe
	s_add_co_u32 s9, s26, s9
	s_mul_i32 s30, s19, s28
	s_add_co_ci_u32 s28, s27, s34
	s_add_co_ci_u32 s31, s33, 0
	s_delay_alu instid0(SALU_CYCLE_1) | instskip(NEXT) | instid1(SALU_CYCLE_1)
	s_add_nc_u64 s[26:27], s[28:29], s[30:31]
	s_mul_u64 s[28:29], s[14:15], s[26:27]
	s_delay_alu instid0(SALU_CYCLE_1)
	s_sub_co_u32 s9, s18, s28
	s_cselect_b32 s18, -1, 0
	s_sub_co_i32 s28, s19, s29
	s_cmp_lg_u32 s18, 0
	s_sub_co_ci_u32 s28, s28, s15
	s_wait_alu 0xfffe
	s_sub_co_u32 s30, s9, s14
	s_cselect_b32 s31, -1, 0
	s_delay_alu instid0(SALU_CYCLE_1) | instskip(SKIP_1) | instid1(SALU_CYCLE_1)
	s_cmp_lg_u32 s31, 0
	s_sub_co_ci_u32 s28, s28, 0
	s_cmp_ge_u32 s28, s15
	s_cselect_b32 s33, -1, 0
	s_cmp_ge_u32 s30, s14
	s_add_nc_u64 s[30:31], s[26:27], 1
	s_cselect_b32 s34, -1, 0
	s_cmp_eq_u32 s28, s15
	s_cselect_b32 s28, s34, s33
	s_add_nc_u64 s[34:35], s[26:27], 2
	s_cmp_lg_u32 s28, 0
	s_cselect_b32 s28, s34, s30
	s_cselect_b32 s30, s35, s31
	s_cmp_lg_u32 s18, 0
	s_sub_co_ci_u32 s18, s19, s29
	s_delay_alu instid0(SALU_CYCLE_1)
	s_cmp_ge_u32 s18, s15
	s_cselect_b32 s19, -1, 0
	s_cmp_ge_u32 s9, s14
	s_cselect_b32 s9, -1, 0
	s_cmp_eq_u32 s18, s15
	s_wait_alu 0xfffe
	s_cselect_b32 s9, s9, s19
	s_wait_alu 0xfffe
	s_cmp_lg_u32 s9, 0
	s_cselect_b32 s15, s30, s27
	s_cselect_b32 s14, s28, s26
	s_xor_b64 s[12:13], s[16:17], s[12:13]
	s_delay_alu instid0(SALU_CYCLE_1) | instskip(NEXT) | instid1(SALU_CYCLE_1)
	s_xor_b64 s[14:15], s[14:15], s[12:13]
	s_sub_nc_u64 s[26:27], s[14:15], s[12:13]
	s_and_not1_b32 vcc_lo, exec_lo, s8
	s_cbranch_vccnz .LBB5_6
.LBB5_5:
	v_cvt_f32_u32_e32 v1, s4
	s_sub_co_i32 s9, 0, s4
	s_mov_b32 s27, 0
	s_delay_alu instid0(VALU_DEP_1) | instskip(NEXT) | instid1(TRANS32_DEP_1)
	v_rcp_iflag_f32_e32 v1, v1
	v_mul_f32_e32 v1, 0x4f7ffffe, v1
	s_delay_alu instid0(VALU_DEP_1) | instskip(NEXT) | instid1(VALU_DEP_1)
	v_cvt_u32_f32_e32 v1, v1
	v_readfirstlane_b32 s8, v1
	s_wait_alu 0xfffe
	s_mul_i32 s9, s9, s8
	s_wait_alu 0xfffe
	s_mul_hi_u32 s9, s8, s9
	s_wait_alu 0xfffe
	s_add_co_i32 s8, s8, s9
	s_wait_alu 0xfffe
	s_mul_hi_u32 s8, s24, s8
	s_wait_alu 0xfffe
	s_mul_i32 s9, s8, s4
	s_add_co_i32 s12, s8, 1
	s_wait_alu 0xfffe
	s_sub_co_i32 s9, s24, s9
	s_wait_alu 0xfffe
	s_sub_co_i32 s13, s9, s4
	s_cmp_ge_u32 s9, s4
	s_cselect_b32 s8, s12, s8
	s_cselect_b32 s9, s13, s9
	s_wait_alu 0xfffe
	s_add_co_i32 s12, s8, 1
	s_cmp_ge_u32 s9, s4
	s_cselect_b32 s26, s12, s8
.LBB5_6:
	s_clause 0x2
	s_load_b128 s[12:15], s[0:1], 0x0
	s_load_b96 s[16:18], s[0:1], 0x10
	s_load_b32 s19, s[0:1], 0x54
	v_mov_b32_e32 v1, 0
	s_mov_b32 s28, exec_lo
	s_delay_alu instid0(VALU_DEP_1)
	v_cmpx_gt_i64_e64 s[6:7], v[0:1]
	s_cbranch_execz .LBB5_10
; %bb.7:
	s_mul_u64 s[0:1], s[22:23], s[10:11]
	s_mul_u64 s[8:9], s[26:27], s[6:7]
	s_lshl_b64 s[0:1], s[0:1], 2
	s_wait_alu 0xfffe
	s_lshl_b64 s[8:9], s[8:9], 2
	s_wait_kmcnt 0x0
	s_add_nc_u64 s[0:1], s[14:15], s[0:1]
	v_dual_mov_b32 v5, 0 :: v_dual_lshlrev_b32 v4, 2, v0
	s_wait_alu 0xfffe
	s_add_nc_u64 s[8:9], s[0:1], s[8:9]
	s_mul_u64 s[0:1], s[26:27], s[4:5]
	s_mul_u64 s[2:3], s[22:23], s[2:3]
	s_sub_nc_u64 s[0:1], s[24:25], s[0:1]
	s_lshl_b64 s[2:3], s[2:3], 2
	s_mul_u64 s[0:1], s[0:1], s[6:7]
	s_wait_alu 0xfffe
	v_add_co_u32 v2, s4, s8, v4
	s_add_nc_u64 s[2:3], s[16:17], s[2:3]
	s_lshl_b64 s[0:1], s[0:1], 2
	v_add_co_ci_u32_e64 v3, null, s9, 0, s4
	v_mov_b32_e32 v1, v5
	s_lshl_b64 s[10:11], s[6:7], 2
	s_add_nc_u64 s[6:7], s[2:3], s[0:1]
	s_and_b32 s0, s19, 0xffff
	s_add_nc_u64 s[10:11], s[8:9], s[10:11]
	s_mov_b32 s14, 0
	s_lshl_b32 s5, s0, 2
	s_mov_b32 s15, 0x3e76c4e1
	s_lshl_b32 s16, s0, 2
.LBB5_8:                                ; =>This Inner Loop Header: Depth=1
	v_add_co_u32 v6, vcc_lo, s8, v4
	s_wait_alu 0xfffd
	v_add_co_ci_u32_e64 v7, null, s9, v5, vcc_lo
	s_wait_alu 0xfffe
	v_add_co_u32 v8, vcc_lo, s6, v4
	s_wait_alu 0xfffd
	v_add_co_ci_u32_e64 v9, null, s7, v5, vcc_lo
	global_load_b32 v6, v[6:7], off
	global_load_b32 v7, v[8:9], off
	v_add_co_u32 v2, vcc_lo, v2, s16
	s_wait_alu 0xfffd
	v_add_co_ci_u32_e64 v3, null, 0, v3, vcc_lo
	s_delay_alu instid0(VALU_DEP_1) | instskip(SKIP_2) | instid1(VALU_DEP_1)
	v_cmp_le_u64_e32 vcc_lo, s[10:11], v[2:3]
	s_wait_loadcnt 0x0
	v_sub_f32_e32 v6, v6, v7
	v_cmp_neq_f32_e64 s0, |v6|, 1.0
	s_wait_alu 0xf1ff
	s_delay_alu instid0(VALU_DEP_1) | instskip(NEXT) | instid1(VALU_DEP_1)
	v_cndmask_b32_e64 v8, 1.0, s18, s0
	v_cmp_neq_f32_e64 s0, 0, v8
	v_cmp_neq_f32_e64 s17, v8, |v8|
	s_wait_alu 0xf1ff
	s_delay_alu instid0(VALU_DEP_2) | instskip(SKIP_1) | instid1(VALU_DEP_2)
	v_cndmask_b32_e64 v9, 1.0, |v6|, s0
	v_cmp_gt_f32_e64 s0, 0, v8
	v_cvt_f64_f32_e32 v[6:7], v9
	v_frexp_mant_f32_e32 v10, v9
	v_cmp_gt_f32_e64 s1, 1.0, v9
	v_cmp_eq_f32_e64 s3, 0, v9
	v_cmp_eq_f32_e64 s2, 0x7f800000, v9
	s_delay_alu instid0(VALU_DEP_4)
	v_cmp_gt_f32_e64 s4, 0x3f2aaaab, v10
	s_xor_b32 s1, s17, s1
	s_xor_b32 s0, s0, s3
	s_wait_alu 0xfffe
	v_cndmask_b32_e64 v12, 0x7f800000, 0, s1
	v_cmp_neq_f32_e64 s1, 1.0, v9
	v_cndmask_b32_e64 v11, 1.0, 2.0, s4
	v_cndmask_b32_e64 v13, 0x7f800000, 0, s0
	s_delay_alu instid0(VALU_DEP_2) | instskip(SKIP_2) | instid1(VALU_DEP_2)
	v_mul_f32_e32 v10, v10, v11
	s_wait_alu 0xf1ff
	v_cndmask_b32_e64 v11, 1.0, v12, s1
	v_add_f32_e32 v12, 1.0, v10
	v_add_f32_e32 v14, -1.0, v10
	s_delay_alu instid0(VALU_DEP_2) | instskip(SKIP_1) | instid1(VALU_DEP_1)
	v_rcp_f32_e32 v15, v12
	v_add_f32_e32 v16, -1.0, v12
	v_sub_f32_e32 v10, v10, v16
	v_frexp_exp_i32_f64_e32 v6, v[6:7]
	s_delay_alu instid0(VALU_DEP_1) | instskip(NEXT) | instid1(VALU_DEP_1)
	v_subrev_co_ci_u32_e64 v6, null, 0, v6, s4
	v_cvt_f32_i32_e32 v6, v6
	s_delay_alu instid0(TRANS32_DEP_1) | instskip(NEXT) | instid1(VALU_DEP_1)
	v_mul_f32_e32 v16, v14, v15
	v_mul_f32_e32 v17, v12, v16
	s_delay_alu instid0(VALU_DEP_1) | instskip(NEXT) | instid1(VALU_DEP_1)
	v_fma_f32 v7, v16, v12, -v17
	v_fmac_f32_e32 v7, v16, v10
	s_delay_alu instid0(VALU_DEP_1) | instskip(NEXT) | instid1(VALU_DEP_1)
	v_add_f32_e32 v10, v17, v7
	v_sub_f32_e32 v17, v10, v17
	s_delay_alu instid0(VALU_DEP_1) | instskip(NEXT) | instid1(VALU_DEP_1)
	v_dual_sub_f32 v7, v17, v7 :: v_dual_sub_f32 v12, v14, v10
	v_sub_f32_e32 v14, v14, v12
	s_delay_alu instid0(VALU_DEP_1) | instskip(NEXT) | instid1(VALU_DEP_1)
	v_sub_f32_e32 v10, v14, v10
	v_add_f32_e32 v7, v7, v10
	s_delay_alu instid0(VALU_DEP_1) | instskip(NEXT) | instid1(VALU_DEP_1)
	v_dual_add_f32 v7, v12, v7 :: v_dual_mul_f32 v12, 0x3f317218, v6
	v_mul_f32_e32 v7, v15, v7
	s_delay_alu instid0(VALU_DEP_2) | instskip(NEXT) | instid1(VALU_DEP_1)
	v_fma_f32 v17, 0x3f317218, v6, -v12
	v_dual_fmac_f32 v17, 0xb102e308, v6 :: v_dual_add_f32 v10, v16, v7
	s_delay_alu instid0(VALU_DEP_1) | instskip(NEXT) | instid1(VALU_DEP_2)
	v_add_f32_e32 v19, v12, v17
	v_mul_f32_e32 v15, v10, v10
	v_sub_f32_e32 v14, v10, v16
	s_delay_alu instid0(VALU_DEP_1) | instskip(NEXT) | instid1(VALU_DEP_1)
	v_sub_f32_e32 v7, v7, v14
	v_add_f32_e32 v6, v7, v7
	s_delay_alu instid0(VALU_DEP_4) | instskip(SKIP_1) | instid1(VALU_DEP_2)
	v_fma_f32 v14, v10, v10, -v15
	v_ldexp_f32 v18, v7, 1
	v_fmac_f32_e32 v14, v10, v6
	v_sub_f32_e32 v6, v19, v12
	s_delay_alu instid0(VALU_DEP_2) | instskip(NEXT) | instid1(VALU_DEP_1)
	v_add_f32_e32 v12, v15, v14
	v_dual_sub_f32 v6, v17, v6 :: v_dual_fmaak_f32 v17, s15, v12, 0x3e91f4c4
	v_sub_f32_e32 v15, v12, v15
	s_delay_alu instid0(VALU_DEP_1) | instskip(NEXT) | instid1(VALU_DEP_1)
	v_dual_fmaak_f32 v17, v12, v17, 0x3ecccdef :: v_dual_sub_f32 v14, v14, v15
	v_dual_mul_f32 v21, v12, v17 :: v_dual_mul_f32 v20, v10, v12
	s_delay_alu instid0(VALU_DEP_1) | instskip(NEXT) | instid1(VALU_DEP_1)
	v_fma_f32 v15, v12, v10, -v20
	v_fmac_f32_e32 v15, v12, v7
	s_delay_alu instid0(VALU_DEP_3) | instskip(NEXT) | instid1(VALU_DEP_1)
	v_fma_f32 v7, v12, v17, -v21
	v_fmac_f32_e32 v7, v14, v17
	s_delay_alu instid0(VALU_DEP_3) | instskip(SKIP_1) | instid1(VALU_DEP_3)
	v_fmac_f32_e32 v15, v14, v10
	v_ldexp_f32 v16, v10, 1
	v_add_f32_e32 v12, v21, v7
	s_delay_alu instid0(VALU_DEP_1) | instskip(NEXT) | instid1(VALU_DEP_1)
	v_sub_f32_e32 v17, v12, v21
	v_dual_add_f32 v10, v20, v15 :: v_dual_sub_f32 v7, v7, v17
	s_delay_alu instid0(VALU_DEP_1) | instskip(SKIP_1) | instid1(VALU_DEP_2)
	v_sub_f32_e32 v14, v10, v20
	v_add_f32_e32 v20, 0x3f2aaaaa, v12
	v_dual_add_f32 v7, 0x31739010, v7 :: v_dual_sub_f32 v14, v15, v14
	s_delay_alu instid0(VALU_DEP_2) | instskip(NEXT) | instid1(VALU_DEP_1)
	v_add_f32_e32 v15, 0xbf2aaaaa, v20
	v_sub_f32_e32 v12, v12, v15
	s_delay_alu instid0(VALU_DEP_1) | instskip(NEXT) | instid1(VALU_DEP_1)
	v_add_f32_e32 v7, v7, v12
	v_add_f32_e32 v12, v20, v7
	s_delay_alu instid0(VALU_DEP_1) | instskip(SKIP_1) | instid1(VALU_DEP_2)
	v_sub_f32_e32 v15, v20, v12
	v_mul_f32_e32 v17, v10, v12
	v_add_f32_e32 v7, v7, v15
	s_delay_alu instid0(VALU_DEP_2) | instskip(NEXT) | instid1(VALU_DEP_1)
	v_fma_f32 v15, v10, v12, -v17
	v_fmac_f32_e32 v15, v10, v7
	s_delay_alu instid0(VALU_DEP_1) | instskip(NEXT) | instid1(VALU_DEP_1)
	v_fmac_f32_e32 v15, v14, v12
	v_add_f32_e32 v7, v17, v15
	s_delay_alu instid0(VALU_DEP_1) | instskip(NEXT) | instid1(VALU_DEP_1)
	v_add_f32_e32 v10, v16, v7
	v_sub_f32_e32 v14, v10, v16
	v_sub_f32_e32 v12, v7, v17
	s_delay_alu instid0(VALU_DEP_2) | instskip(NEXT) | instid1(VALU_DEP_2)
	v_sub_f32_e32 v7, v7, v14
	v_sub_f32_e32 v12, v15, v12
	s_delay_alu instid0(VALU_DEP_1) | instskip(NEXT) | instid1(VALU_DEP_1)
	v_add_f32_e32 v12, v18, v12
	v_add_f32_e32 v7, v12, v7
	s_delay_alu instid0(VALU_DEP_1) | instskip(NEXT) | instid1(VALU_DEP_1)
	v_add_f32_e32 v12, v10, v7
	v_add_f32_e32 v14, v19, v12
	s_delay_alu instid0(VALU_DEP_1) | instskip(NEXT) | instid1(VALU_DEP_1)
	v_dual_sub_f32 v10, v12, v10 :: v_dual_sub_f32 v15, v14, v19
	v_dual_sub_f32 v7, v7, v10 :: v_dual_sub_f32 v10, v14, v15
	s_delay_alu instid0(VALU_DEP_1) | instskip(SKIP_1) | instid1(VALU_DEP_3)
	v_add_f32_e32 v16, v6, v7
	v_sub_f32_e32 v12, v12, v15
	v_sub_f32_e32 v10, v19, v10
	s_delay_alu instid0(VALU_DEP_3) | instskip(NEXT) | instid1(VALU_DEP_2)
	v_sub_f32_e32 v15, v16, v6
	v_add_f32_e32 v10, v12, v10
	s_delay_alu instid0(VALU_DEP_2) | instskip(NEXT) | instid1(VALU_DEP_2)
	v_sub_f32_e32 v12, v16, v15
	v_dual_sub_f32 v7, v7, v15 :: v_dual_add_f32 v10, v16, v10
	s_delay_alu instid0(VALU_DEP_2) | instskip(NEXT) | instid1(VALU_DEP_2)
	v_sub_f32_e32 v6, v6, v12
	v_add_f32_e32 v12, v14, v10
	s_delay_alu instid0(VALU_DEP_2) | instskip(NEXT) | instid1(VALU_DEP_2)
	v_add_f32_e32 v6, v7, v6
	v_sub_f32_e32 v7, v12, v14
	s_delay_alu instid0(VALU_DEP_1) | instskip(NEXT) | instid1(VALU_DEP_1)
	v_sub_f32_e32 v7, v10, v7
	v_add_f32_e32 v6, v6, v7
	s_delay_alu instid0(VALU_DEP_1) | instskip(NEXT) | instid1(VALU_DEP_1)
	v_add_f32_e32 v7, v12, v6
	v_sub_f32_e32 v10, v7, v12
	v_mul_f32_e32 v12, v8, v7
	s_delay_alu instid0(VALU_DEP_2) | instskip(NEXT) | instid1(VALU_DEP_2)
	v_sub_f32_e32 v6, v6, v10
	v_fma_f32 v7, v8, v7, -v12
	v_cmp_class_f32_e64 s0, v12, 0x204
	s_delay_alu instid0(VALU_DEP_2) | instskip(NEXT) | instid1(VALU_DEP_1)
	v_fmac_f32_e32 v7, v8, v6
	v_add_f32_e32 v6, v12, v7
	s_wait_alu 0xf1ff
	s_delay_alu instid0(VALU_DEP_1) | instskip(SKIP_1) | instid1(VALU_DEP_2)
	v_cndmask_b32_e64 v10, v6, v12, s0
	v_sub_f32_e32 v6, v6, v12
	v_cmp_eq_f32_e64 s0, 0x42b17218, v10
	s_delay_alu instid0(VALU_DEP_2) | instskip(SKIP_1) | instid1(VALU_DEP_2)
	v_sub_f32_e32 v6, v7, v6
	s_wait_alu 0xf1ff
	v_cndmask_b32_e64 v12, 0, 0x37000000, s0
	v_cmp_neq_f32_e64 s0, 0x7f800000, |v10|
	s_delay_alu instid0(VALU_DEP_2) | instskip(SKIP_1) | instid1(VALU_DEP_2)
	v_sub_f32_e32 v7, v10, v12
	s_wait_alu 0xf1ff
	v_cndmask_b32_e64 v6, 0, v6, s0
	s_delay_alu instid0(VALU_DEP_2) | instskip(NEXT) | instid1(VALU_DEP_2)
	v_mul_f32_e32 v10, 0x3fb8aa3b, v7
	v_add_f32_e32 v6, v12, v6
	v_cmp_ngt_f32_e64 s0, 0xc2ce8ed0, v7
	s_delay_alu instid0(VALU_DEP_3) | instskip(SKIP_1) | instid1(VALU_DEP_2)
	v_fma_f32 v12, 0x3fb8aa3b, v7, -v10
	v_rndne_f32_e32 v14, v10
	v_fmac_f32_e32 v12, 0x32a5705f, v7
	s_delay_alu instid0(VALU_DEP_2) | instskip(NEXT) | instid1(VALU_DEP_1)
	v_sub_f32_e32 v10, v10, v14
	v_add_f32_e32 v10, v10, v12
	v_cvt_i32_f32_e32 v12, v14
	s_delay_alu instid0(VALU_DEP_2) | instskip(NEXT) | instid1(TRANS32_DEP_1)
	v_exp_f32_e32 v10, v10
	v_ldexp_f32 v10, v10, v12
	s_wait_alu 0xf1ff
	s_delay_alu instid0(VALU_DEP_1) | instskip(SKIP_2) | instid1(VALU_DEP_1)
	v_cndmask_b32_e64 v10, 0, v10, s0
	v_cmp_nlt_f32_e64 s0, 0x42b17218, v7
	s_wait_alu 0xf1ff
	v_cndmask_b32_e64 v7, 0x7f800000, v10, s0
	s_delay_alu instid0(VALU_DEP_1) | instskip(SKIP_2) | instid1(VALU_DEP_1)
	v_fma_f32 v6, v7, v6, v7
	v_cmp_class_f32_e64 s0, v7, 0x204
	s_wait_alu 0xf1ff
	v_cndmask_b32_e64 v6, v6, v7, s0
	v_cmp_class_f32_e64 s0, v8, 0x204
	s_wait_alu 0xf1ff
	s_delay_alu instid0(VALU_DEP_1) | instskip(SKIP_3) | instid1(VALU_DEP_1)
	v_cndmask_b32_e64 v6, |v6|, v11, s0
	s_or_b32 s0, s3, s2
	s_or_b32 s14, vcc_lo, s14
	s_wait_alu 0xfffe
	v_cndmask_b32_e64 v6, v6, v13, s0
	v_cmp_o_f32_e64 s0, v9, v8
	s_wait_alu 0xf1ff
	s_delay_alu instid0(VALU_DEP_1) | instskip(SKIP_3) | instid1(VALU_DEP_3)
	v_cndmask_b32_e64 v6, 0x7fc00000, v6, s0
	v_add_co_u32 v4, s0, v4, s5
	s_wait_alu 0xf1ff
	v_add_co_ci_u32_e64 v5, null, 0, v5, s0
	v_add_f32_e32 v1, v1, v6
	s_and_not1_b32 exec_lo, exec_lo, s14
	s_cbranch_execnz .LBB5_8
; %bb.9:
	s_or_b32 exec_lo, exec_lo, s14
.LBB5_10:
	s_delay_alu instid0(SALU_CYCLE_1) | instskip(SKIP_4) | instid1(VALU_DEP_1)
	s_or_b32 exec_lo, exec_lo, s28
	v_mbcnt_lo_u32_b32 v5, -1, 0
	s_mov_b32 s0, exec_lo
	s_barrier_signal -1
	s_barrier_wait -1
	v_lshl_or_b32 v2, v5, 2, 64
	v_cmp_gt_u32_e32 vcc_lo, 24, v5
	global_inv scope:SCOPE_SE
	ds_bpermute_b32 v4, v2, v1
	s_wait_alu 0xfffd
	v_cndmask_b32_e64 v3, 0, 8, vcc_lo
	v_cmp_gt_u32_e32 vcc_lo, 28, v5
	s_delay_alu instid0(VALU_DEP_2)
	v_add_lshl_u32 v3, v3, v5, 2
	s_wait_dscnt 0x0
	v_add_f32_e32 v4, v1, v4
	s_wait_alu 0xfffd
	v_cndmask_b32_e64 v1, 0, 4, vcc_lo
	v_cmp_gt_u32_e32 vcc_lo, 30, v5
	ds_bpermute_b32 v6, v3, v4
	v_add_lshl_u32 v1, v1, v5, 2
	s_wait_dscnt 0x0
	v_add_f32_e32 v6, v4, v6
	s_wait_alu 0xfffd
	v_cndmask_b32_e64 v4, 0, 2, vcc_lo
	v_cmp_ne_u32_e32 vcc_lo, 31, v5
	ds_bpermute_b32 v7, v1, v6
	v_add_lshl_u32 v4, v4, v5, 2
	s_wait_alu 0xfffd
	v_add_co_ci_u32_e64 v5, null, 0, v5, vcc_lo
	s_wait_dscnt 0x0
	s_delay_alu instid0(VALU_DEP_1)
	v_dual_add_f32 v6, v6, v7 :: v_dual_lshlrev_b32 v5, 2, v5
	ds_bpermute_b32 v7, v4, v6
	s_wait_dscnt 0x0
	v_dual_add_f32 v6, v6, v7 :: v_dual_and_b32 v7, 31, v0
	ds_bpermute_b32 v8, v5, v6
	v_cmpx_eq_u32_e32 0, v7
	s_cbranch_execz .LBB5_12
; %bb.11:
	s_wait_dscnt 0x0
	v_add_f32_e32 v6, v6, v8
	v_lshrrev_b32_e32 v8, 3, v0
	ds_store_b32 v8, v6
.LBB5_12:
	s_wait_alu 0xfffe
	s_or_b32 exec_lo, exec_lo, s0
	s_wait_kmcnt 0x0
	s_and_b32 s0, 0xffff, s19
	v_mov_b32_e32 v6, 0
	s_wait_alu 0xfffe
	s_lshr_b32 s0, s0, 5
	s_wait_loadcnt_dscnt 0x0
	s_wait_alu 0xfffe
	v_cmp_gt_u32_e32 vcc_lo, s0, v0
	s_barrier_signal -1
	s_barrier_wait -1
	global_inv scope:SCOPE_SE
	s_and_saveexec_b32 s0, vcc_lo
; %bb.13:
	v_lshlrev_b32_e32 v6, 2, v7
	ds_load_b32 v6, v6
; %bb.14:
	s_wait_alu 0xfffe
	s_or_b32 exec_lo, exec_lo, s0
	s_delay_alu instid0(SALU_CYCLE_1)
	s_mov_b32 s0, exec_lo
	v_cmpx_gt_u32_e32 32, v0
	s_cbranch_execz .LBB5_16
; %bb.15:
	s_wait_dscnt 0x0
	ds_bpermute_b32 v2, v2, v6
	s_wait_dscnt 0x0
	v_add_f32_e32 v2, v6, v2
	ds_bpermute_b32 v3, v3, v2
	s_wait_dscnt 0x0
	v_add_f32_e32 v2, v2, v3
	;; [unrolled: 3-line block ×5, first 2 shown]
.LBB5_16:
	s_wait_alu 0xfffe
	s_or_b32 exec_lo, exec_lo, s0
	s_delay_alu instid0(SALU_CYCLE_1)
	s_mov_b32 s0, exec_lo
	v_cmpx_eq_u32_e32 0, v0
	s_cbranch_execz .LBB5_18
; %bb.17:
	v_div_scale_f32 v0, null, s18, s18, 1.0
	v_div_scale_f32 v3, vcc_lo, 1.0, s18, 1.0
	s_mov_b32 s0, 0x3e76c4e1
	v_rcp_f32_e32 v1, v0
	v_xor_b32_e32 v0, 0x80000000, v0
	s_delay_alu instid0(TRANS32_DEP_1) | instid1(VALU_DEP_1)
	v_fma_f32 v2, v0, v1, 1.0
	s_delay_alu instid0(VALU_DEP_1) | instskip(NEXT) | instid1(VALU_DEP_1)
	v_fmac_f32_e32 v1, v2, v1
	v_mul_f32_e32 v2, v3, v1
	s_delay_alu instid0(VALU_DEP_1) | instskip(NEXT) | instid1(VALU_DEP_1)
	v_fma_f32 v4, v0, v2, v3
	v_fmac_f32_e32 v2, v4, v1
	s_delay_alu instid0(VALU_DEP_1) | instskip(SKIP_1) | instid1(VALU_DEP_1)
	v_fmac_f32_e32 v3, v0, v2
	s_wait_alu 0xfffd
	v_div_fmas_f32 v0, v3, v1, v2
	s_wait_dscnt 0x0
	v_cmp_neq_f32_e32 vcc_lo, 1.0, v6
	s_delay_alu instid0(VALU_DEP_2) | instskip(SKIP_1) | instid1(VALU_DEP_1)
	v_div_fixup_f32 v0, v0, s18, 1.0
	s_wait_alu 0xfffd
	v_cndmask_b32_e32 v2, 1.0, v0, vcc_lo
	s_delay_alu instid0(VALU_DEP_1) | instskip(SKIP_3) | instid1(VALU_DEP_1)
	v_cmp_neq_f32_e32 vcc_lo, 0, v2
	v_cmp_neq_f32_e64 s3, v2, |v2|
	s_wait_alu 0xfffd
	v_cndmask_b32_e32 v3, 1.0, v6, vcc_lo
	v_frexp_mant_f32_e64 v0, |v3|
	v_cmp_lt_f32_e64 s4, |v3|, 1.0
	v_cmp_eq_f32_e64 s2, 0, v3
	s_delay_alu instid0(VALU_DEP_3) | instskip(SKIP_3) | instid1(VALU_DEP_1)
	v_cmp_gt_f32_e32 vcc_lo, 0x3f2aaaab, v0
	s_xor_b32 s3, s3, s4
	s_wait_alu 0xfffd
	v_cndmask_b32_e64 v1, 1.0, 2.0, vcc_lo
	v_mul_f32_e32 v0, v0, v1
	s_delay_alu instid0(VALU_DEP_1) | instskip(SKIP_1) | instid1(VALU_DEP_2)
	v_add_f32_e32 v1, 1.0, v0
	v_add_f32_e32 v5, -1.0, v0
	v_rcp_f32_e32 v4, v1
	s_delay_alu instid0(TRANS32_DEP_1) | instskip(NEXT) | instid1(VALU_DEP_1)
	v_mul_f32_e32 v6, v5, v4
	v_dual_mul_f32 v8, v1, v6 :: v_dual_add_f32 v7, -1.0, v1
	s_delay_alu instid0(VALU_DEP_1) | instskip(NEXT) | instid1(VALU_DEP_2)
	v_fma_f32 v1, v6, v1, -v8
	v_sub_f32_e32 v0, v0, v7
	s_delay_alu instid0(VALU_DEP_1) | instskip(NEXT) | instid1(VALU_DEP_1)
	v_fmac_f32_e32 v1, v6, v0
	v_add_f32_e32 v0, v8, v1
	s_delay_alu instid0(VALU_DEP_1) | instskip(NEXT) | instid1(VALU_DEP_1)
	v_sub_f32_e32 v7, v5, v0
	v_dual_sub_f32 v8, v0, v8 :: v_dual_sub_f32 v5, v5, v7
	s_delay_alu instid0(VALU_DEP_1) | instskip(NEXT) | instid1(VALU_DEP_1)
	v_dual_sub_f32 v1, v8, v1 :: v_dual_sub_f32 v0, v5, v0
	v_add_f32_e32 v0, v1, v0
	s_delay_alu instid0(VALU_DEP_1) | instskip(NEXT) | instid1(VALU_DEP_1)
	v_add_f32_e32 v0, v7, v0
	v_mul_f32_e32 v0, v4, v0
	s_delay_alu instid0(VALU_DEP_1) | instskip(NEXT) | instid1(VALU_DEP_1)
	v_add_f32_e32 v4, v6, v0
	v_sub_f32_e32 v1, v4, v6
	s_delay_alu instid0(VALU_DEP_1) | instskip(NEXT) | instid1(VALU_DEP_1)
	v_sub_f32_e32 v6, v0, v1
	v_dual_mul_f32 v5, v4, v4 :: v_dual_add_f32 v0, v6, v6
	s_delay_alu instid0(VALU_DEP_1) | instskip(NEXT) | instid1(VALU_DEP_1)
	v_fma_f32 v7, v4, v4, -v5
	v_fmac_f32_e32 v7, v4, v0
	v_cvt_f64_f32_e64 v[0:1], |v3|
	s_delay_alu instid0(VALU_DEP_2) | instskip(SKIP_1) | instid1(VALU_DEP_1)
	v_add_f32_e32 v8, v5, v7
	s_wait_alu 0xfffe
	v_fmaak_f32 v9, s0, v8, 0x3e91f4c4
	v_sub_f32_e32 v5, v8, v5
	v_mul_f32_e32 v12, v4, v8
	s_delay_alu instid0(VALU_DEP_3) | instskip(NEXT) | instid1(VALU_DEP_3)
	v_fmaak_f32 v9, v8, v9, 0x3ecccdef
	v_sub_f32_e32 v5, v7, v5
	s_delay_alu instid0(VALU_DEP_2) | instskip(NEXT) | instid1(VALU_DEP_1)
	v_mul_f32_e32 v10, v8, v9
	v_fma_f32 v7, v8, v9, -v10
	s_delay_alu instid0(VALU_DEP_1) | instskip(NEXT) | instid1(VALU_DEP_1)
	v_fmac_f32_e32 v7, v5, v9
	v_add_f32_e32 v9, v10, v7
	v_frexp_exp_i32_f64_e32 v0, v[0:1]
	s_delay_alu instid0(VALU_DEP_2) | instskip(NEXT) | instid1(VALU_DEP_1)
	v_sub_f32_e32 v10, v9, v10
	v_sub_f32_e32 v1, v7, v10
	v_fma_f32 v10, v8, v4, -v12
	s_delay_alu instid0(VALU_DEP_1) | instskip(NEXT) | instid1(VALU_DEP_1)
	v_dual_add_f32 v11, 0x3f2aaaaa, v9 :: v_dual_fmac_f32 v10, v8, v6
	v_add_f32_e32 v7, 0xbf2aaaaa, v11
	v_ldexp_f32 v6, v6, 1
	s_delay_alu instid0(VALU_DEP_3) | instskip(NEXT) | instid1(VALU_DEP_3)
	v_dual_fmac_f32 v10, v5, v4 :: v_dual_add_f32 v1, 0x31739010, v1
	v_sub_f32_e32 v7, v9, v7
	s_delay_alu instid0(VALU_DEP_1) | instskip(NEXT) | instid1(VALU_DEP_3)
	v_add_f32_e32 v1, v1, v7
	v_add_f32_e32 v7, v12, v10
	s_delay_alu instid0(VALU_DEP_2) | instskip(NEXT) | instid1(VALU_DEP_1)
	v_add_f32_e32 v5, v11, v1
	v_sub_f32_e32 v8, v11, v5
	s_delay_alu instid0(VALU_DEP_3) | instskip(SKIP_1) | instid1(VALU_DEP_3)
	v_mul_f32_e32 v9, v7, v5
	v_subrev_co_ci_u32_e64 v0, null, 0, v0, vcc_lo
	v_add_f32_e32 v1, v1, v8
	s_delay_alu instid0(VALU_DEP_3) | instskip(NEXT) | instid1(VALU_DEP_3)
	v_fma_f32 v8, v7, v5, -v9
	v_cvt_f32_i32_e32 v0, v0
	v_sub_f32_e32 v11, v7, v12
	s_delay_alu instid0(VALU_DEP_3) | instskip(SKIP_1) | instid1(VALU_DEP_3)
	v_fmac_f32_e32 v8, v7, v1
	v_ldexp_f32 v1, v4, 1
	v_sub_f32_e32 v10, v10, v11
	s_delay_alu instid0(VALU_DEP_1) | instskip(NEXT) | instid1(VALU_DEP_1)
	v_fmac_f32_e32 v8, v10, v5
	v_add_f32_e32 v4, v9, v8
	s_delay_alu instid0(VALU_DEP_1) | instskip(SKIP_1) | instid1(VALU_DEP_2)
	v_add_f32_e32 v5, v1, v4
	v_sub_f32_e32 v7, v4, v9
	v_sub_f32_e32 v1, v5, v1
	s_delay_alu instid0(VALU_DEP_2) | instskip(NEXT) | instid1(VALU_DEP_1)
	v_sub_f32_e32 v7, v8, v7
	v_dual_sub_f32 v1, v4, v1 :: v_dual_add_f32 v4, v6, v7
	s_delay_alu instid0(VALU_DEP_1) | instskip(NEXT) | instid1(VALU_DEP_1)
	v_add_f32_e32 v1, v4, v1
	v_dual_mul_f32 v9, 0x3f317218, v0 :: v_dual_add_f32 v6, v5, v1
	s_delay_alu instid0(VALU_DEP_1) | instskip(NEXT) | instid1(VALU_DEP_1)
	v_fma_f32 v8, 0x3f317218, v0, -v9
	v_fmamk_f32 v0, v0, 0xb102e308, v8
	s_delay_alu instid0(VALU_DEP_1) | instskip(NEXT) | instid1(VALU_DEP_1)
	v_add_f32_e32 v4, v9, v0
	v_add_f32_e32 v7, v4, v6
	s_delay_alu instid0(VALU_DEP_1) | instskip(NEXT) | instid1(VALU_DEP_1)
	v_dual_sub_f32 v9, v4, v9 :: v_dual_sub_f32 v8, v7, v4
	v_sub_f32_e32 v0, v0, v9
	s_delay_alu instid0(VALU_DEP_2) | instskip(NEXT) | instid1(VALU_DEP_1)
	v_dual_sub_f32 v10, v7, v8 :: v_dual_sub_f32 v5, v6, v5
	v_dual_sub_f32 v4, v4, v10 :: v_dual_sub_f32 v1, v1, v5
	s_delay_alu instid0(VALU_DEP_1) | instskip(NEXT) | instid1(VALU_DEP_1)
	v_dual_sub_f32 v5, v6, v8 :: v_dual_add_f32 v6, v0, v1
	v_add_f32_e32 v4, v5, v4
	s_delay_alu instid0(VALU_DEP_2) | instskip(NEXT) | instid1(VALU_DEP_2)
	v_sub_f32_e32 v5, v6, v0
	v_add_f32_e32 v4, v6, v4
	s_delay_alu instid0(VALU_DEP_2) | instskip(NEXT) | instid1(VALU_DEP_2)
	v_sub_f32_e32 v6, v6, v5
	v_add_f32_e32 v8, v7, v4
	s_delay_alu instid0(VALU_DEP_2) | instskip(NEXT) | instid1(VALU_DEP_1)
	v_dual_sub_f32 v0, v0, v6 :: v_dual_sub_f32 v1, v1, v5
	v_dual_sub_f32 v5, v8, v7 :: v_dual_add_f32 v0, v1, v0
	s_delay_alu instid0(VALU_DEP_1) | instskip(NEXT) | instid1(VALU_DEP_1)
	v_sub_f32_e32 v1, v4, v5
	v_add_f32_e32 v0, v0, v1
	s_delay_alu instid0(VALU_DEP_1) | instskip(NEXT) | instid1(VALU_DEP_1)
	v_add_f32_e32 v1, v8, v0
	v_dual_sub_f32 v4, v1, v8 :: v_dual_mul_f32 v5, v2, v1
	s_delay_alu instid0(VALU_DEP_1) | instskip(NEXT) | instid1(VALU_DEP_2)
	v_sub_f32_e32 v0, v0, v4
	v_fma_f32 v1, v2, v1, -v5
	v_cmp_class_f32_e64 vcc_lo, v5, 0x204
	s_delay_alu instid0(VALU_DEP_2) | instskip(NEXT) | instid1(VALU_DEP_1)
	v_fmac_f32_e32 v1, v2, v0
	v_add_f32_e32 v0, v5, v1
	s_wait_alu 0xfffd
	s_delay_alu instid0(VALU_DEP_1) | instskip(NEXT) | instid1(VALU_DEP_1)
	v_cndmask_b32_e32 v4, v0, v5, vcc_lo
	v_cmp_eq_f32_e32 vcc_lo, 0x42b17218, v4
	s_wait_alu 0xfffd
	v_cndmask_b32_e64 v6, 0, 0x37000000, vcc_lo
	v_cmp_neq_f32_e64 vcc_lo, 0x7f800000, |v4|
	s_delay_alu instid0(VALU_DEP_2) | instskip(SKIP_1) | instid1(VALU_DEP_2)
	v_sub_f32_e32 v7, v4, v6
	v_trunc_f32_e32 v4, v2
	v_mul_f32_e32 v8, 0x3fb8aa3b, v7
	s_delay_alu instid0(VALU_DEP_1) | instskip(SKIP_1) | instid1(VALU_DEP_1)
	v_fma_f32 v9, 0x3fb8aa3b, v7, -v8
	v_rndne_f32_e32 v10, v8
	v_dual_sub_f32 v8, v8, v10 :: v_dual_fmamk_f32 v9, v7, 0x32a5705f, v9
	v_sub_f32_e32 v0, v0, v5
	v_cvt_i32_f32_e32 v5, v10
	s_delay_alu instid0(VALU_DEP_3) | instskip(NEXT) | instid1(VALU_DEP_3)
	v_add_f32_e32 v8, v8, v9
	v_sub_f32_e32 v0, v1, v0
	s_delay_alu instid0(VALU_DEP_2) | instskip(SKIP_1) | instid1(VALU_DEP_1)
	v_exp_f32_e32 v8, v8
	s_wait_alu 0xfffd
	v_cndmask_b32_e32 v0, 0, v0, vcc_lo
	v_cmp_ngt_f32_e32 vcc_lo, 0xc2ce8ed0, v7
	s_delay_alu instid0(TRANS32_DEP_1) | instskip(SKIP_2) | instid1(VALU_DEP_2)
	v_ldexp_f32 v1, v8, v5
	v_mul_f32_e32 v5, 0.5, v2
	s_wait_alu 0xfffd
	v_cndmask_b32_e32 v1, 0, v1, vcc_lo
	v_cmp_nlt_f32_e32 vcc_lo, 0x42b17218, v7
	s_delay_alu instid0(VALU_DEP_3) | instskip(SKIP_1) | instid1(VALU_DEP_3)
	v_trunc_f32_e32 v8, v5
	s_wait_alu 0xfffd
	v_dual_add_f32 v0, v6, v0 :: v_dual_cndmask_b32 v1, 0x7f800000, v1
	v_cmp_eq_f32_e32 vcc_lo, v4, v2
	s_delay_alu instid0(VALU_DEP_3) | instskip(NEXT) | instid1(VALU_DEP_3)
	v_cmp_neq_f32_e64 s0, v8, v5
	v_fma_f32 v0, v1, v0, v1
	v_cmp_class_f32_e64 s1, v1, 0x204
	s_and_b32 s0, vcc_lo, s0
	s_wait_alu 0xfffe
	v_cndmask_b32_e64 v4, 1.0, v3, s0
	v_cndmask_b32_e64 v6, 0, v3, s0
	v_cndmask_b32_e64 v0, v0, v1, s1
	;; [unrolled: 1-line block ×3, first 2 shown]
	v_cmp_gt_f32_e64 s1, 0, v2
	v_cmp_class_f32_e64 s0, v3, 0x204
	s_delay_alu instid0(VALU_DEP_4) | instskip(SKIP_3) | instid1(VALU_DEP_2)
	v_bfi_b32 v0, 0x7fffffff, v0, v4
	s_xor_b32 s1, s1, s2
	s_wait_alu 0xfffe
	v_cndmask_b32_e64 v4, 0x7f800000, 0, s1
	v_cndmask_b32_e32 v5, 0x7fc00000, v0, vcc_lo
	v_cmp_neq_f32_e64 vcc_lo, |v3|, 1.0
	s_delay_alu instid0(VALU_DEP_3)
	v_bfi_b32 v4, 0x7fffffff, v4, v6
	s_wait_alu 0xfffd
	v_cndmask_b32_e32 v1, 1.0, v1, vcc_lo
	v_cmp_gt_f32_e32 vcc_lo, 0, v3
	s_wait_alu 0xfffd
	v_cndmask_b32_e32 v0, v0, v5, vcc_lo
	v_cmp_class_f32_e64 vcc_lo, v2, 0x204
	s_wait_alu 0xfffd
	s_delay_alu instid0(VALU_DEP_2)
	v_cndmask_b32_e32 v0, v0, v1, vcc_lo
	s_or_b32 vcc_lo, s2, s0
	v_mov_b32_e32 v1, 0
	s_lshl_b64 s[0:1], s[20:21], 2
	s_wait_alu 0xfffe
	v_cndmask_b32_e32 v0, v0, v4, vcc_lo
	v_cmp_o_f32_e32 vcc_lo, v3, v2
	s_add_nc_u64 s[0:1], s[12:13], s[0:1]
	s_wait_alu 0xfffd
	s_delay_alu instid0(VALU_DEP_2)
	v_cndmask_b32_e32 v0, 0x7fc00000, v0, vcc_lo
	global_store_b32 v1, v0, s[0:1]
.LBB5_18:
	s_endpgm
.LBB5_19:
                                        ; implicit-def: $sgpr22_sgpr23
	s_branch .LBB5_2
.LBB5_20:
                                        ; implicit-def: $sgpr26_sgpr27
	s_branch .LBB5_5
	.section	.rodata,"a",@progbits
	.p2align	6, 0x0
	.amdhsa_kernel _ZN2at6native12_GLOBAL__N_122cdist_kernel_cuda_implIfNS1_5distsIfE1pEEEvPT_PKS6_S9_S6_lllll
		.amdhsa_group_segment_fixed_size 1024
		.amdhsa_private_segment_fixed_size 0
		.amdhsa_kernarg_size 328
		.amdhsa_user_sgpr_count 2
		.amdhsa_user_sgpr_dispatch_ptr 0
		.amdhsa_user_sgpr_queue_ptr 0
		.amdhsa_user_sgpr_kernarg_segment_ptr 1
		.amdhsa_user_sgpr_dispatch_id 0
		.amdhsa_user_sgpr_private_segment_size 0
		.amdhsa_wavefront_size32 1
		.amdhsa_uses_dynamic_stack 0
		.amdhsa_enable_private_segment 0
		.amdhsa_system_sgpr_workgroup_id_x 1
		.amdhsa_system_sgpr_workgroup_id_y 0
		.amdhsa_system_sgpr_workgroup_id_z 0
		.amdhsa_system_sgpr_workgroup_info 0
		.amdhsa_system_vgpr_workitem_id 0
		.amdhsa_next_free_vgpr 22
		.amdhsa_next_free_sgpr 36
		.amdhsa_reserve_vcc 1
		.amdhsa_float_round_mode_32 0
		.amdhsa_float_round_mode_16_64 0
		.amdhsa_float_denorm_mode_32 3
		.amdhsa_float_denorm_mode_16_64 3
		.amdhsa_fp16_overflow 0
		.amdhsa_workgroup_processor_mode 1
		.amdhsa_memory_ordered 1
		.amdhsa_forward_progress 1
		.amdhsa_inst_pref_size 37
		.amdhsa_round_robin_scheduling 0
		.amdhsa_exception_fp_ieee_invalid_op 0
		.amdhsa_exception_fp_denorm_src 0
		.amdhsa_exception_fp_ieee_div_zero 0
		.amdhsa_exception_fp_ieee_overflow 0
		.amdhsa_exception_fp_ieee_underflow 0
		.amdhsa_exception_fp_ieee_inexact 0
		.amdhsa_exception_int_div_zero 0
	.end_amdhsa_kernel
	.section	.text._ZN2at6native12_GLOBAL__N_122cdist_kernel_cuda_implIfNS1_5distsIfE1pEEEvPT_PKS6_S9_S6_lllll,"axG",@progbits,_ZN2at6native12_GLOBAL__N_122cdist_kernel_cuda_implIfNS1_5distsIfE1pEEEvPT_PKS6_S9_S6_lllll,comdat
.Lfunc_end5:
	.size	_ZN2at6native12_GLOBAL__N_122cdist_kernel_cuda_implIfNS1_5distsIfE1pEEEvPT_PKS6_S9_S6_lllll, .Lfunc_end5-_ZN2at6native12_GLOBAL__N_122cdist_kernel_cuda_implIfNS1_5distsIfE1pEEEvPT_PKS6_S9_S6_lllll
                                        ; -- End function
	.set _ZN2at6native12_GLOBAL__N_122cdist_kernel_cuda_implIfNS1_5distsIfE1pEEEvPT_PKS6_S9_S6_lllll.num_vgpr, 22
	.set _ZN2at6native12_GLOBAL__N_122cdist_kernel_cuda_implIfNS1_5distsIfE1pEEEvPT_PKS6_S9_S6_lllll.num_agpr, 0
	.set _ZN2at6native12_GLOBAL__N_122cdist_kernel_cuda_implIfNS1_5distsIfE1pEEEvPT_PKS6_S9_S6_lllll.numbered_sgpr, 36
	.set _ZN2at6native12_GLOBAL__N_122cdist_kernel_cuda_implIfNS1_5distsIfE1pEEEvPT_PKS6_S9_S6_lllll.num_named_barrier, 0
	.set _ZN2at6native12_GLOBAL__N_122cdist_kernel_cuda_implIfNS1_5distsIfE1pEEEvPT_PKS6_S9_S6_lllll.private_seg_size, 0
	.set _ZN2at6native12_GLOBAL__N_122cdist_kernel_cuda_implIfNS1_5distsIfE1pEEEvPT_PKS6_S9_S6_lllll.uses_vcc, 1
	.set _ZN2at6native12_GLOBAL__N_122cdist_kernel_cuda_implIfNS1_5distsIfE1pEEEvPT_PKS6_S9_S6_lllll.uses_flat_scratch, 0
	.set _ZN2at6native12_GLOBAL__N_122cdist_kernel_cuda_implIfNS1_5distsIfE1pEEEvPT_PKS6_S9_S6_lllll.has_dyn_sized_stack, 0
	.set _ZN2at6native12_GLOBAL__N_122cdist_kernel_cuda_implIfNS1_5distsIfE1pEEEvPT_PKS6_S9_S6_lllll.has_recursion, 0
	.set _ZN2at6native12_GLOBAL__N_122cdist_kernel_cuda_implIfNS1_5distsIfE1pEEEvPT_PKS6_S9_S6_lllll.has_indirect_call, 0
	.section	.AMDGPU.csdata,"",@progbits
; Kernel info:
; codeLenInByte = 4732
; TotalNumSgprs: 38
; NumVgprs: 22
; ScratchSize: 0
; MemoryBound: 0
; FloatMode: 240
; IeeeMode: 1
; LDSByteSize: 1024 bytes/workgroup (compile time only)
; SGPRBlocks: 0
; VGPRBlocks: 2
; NumSGPRsForWavesPerEU: 38
; NumVGPRsForWavesPerEU: 22
; Occupancy: 16
; WaveLimiterHint : 0
; COMPUTE_PGM_RSRC2:SCRATCH_EN: 0
; COMPUTE_PGM_RSRC2:USER_SGPR: 2
; COMPUTE_PGM_RSRC2:TRAP_HANDLER: 0
; COMPUTE_PGM_RSRC2:TGID_X_EN: 1
; COMPUTE_PGM_RSRC2:TGID_Y_EN: 0
; COMPUTE_PGM_RSRC2:TGID_Z_EN: 0
; COMPUTE_PGM_RSRC2:TIDIG_COMP_CNT: 0
	.section	.text._ZN2at6native12_GLOBAL__N_122cdist_kernel_cuda_implIfNS1_5distsIfE4zeroEEEvPT_PKS6_S9_S6_lllll,"axG",@progbits,_ZN2at6native12_GLOBAL__N_122cdist_kernel_cuda_implIfNS1_5distsIfE4zeroEEEvPT_PKS6_S9_S6_lllll,comdat
	.globl	_ZN2at6native12_GLOBAL__N_122cdist_kernel_cuda_implIfNS1_5distsIfE4zeroEEEvPT_PKS6_S9_S6_lllll ; -- Begin function _ZN2at6native12_GLOBAL__N_122cdist_kernel_cuda_implIfNS1_5distsIfE4zeroEEEvPT_PKS6_S9_S6_lllll
	.p2align	8
	.type	_ZN2at6native12_GLOBAL__N_122cdist_kernel_cuda_implIfNS1_5distsIfE4zeroEEEvPT_PKS6_S9_S6_lllll,@function
_ZN2at6native12_GLOBAL__N_122cdist_kernel_cuda_implIfNS1_5distsIfE4zeroEEEvPT_PKS6_S9_S6_lllll: ; @_ZN2at6native12_GLOBAL__N_122cdist_kernel_cuda_implIfNS1_5distsIfE4zeroEEEvPT_PKS6_S9_S6_lllll
; %bb.0:
	s_clause 0x1
	s_load_b256 s[4:11], s[0:1], 0x20
	s_load_b64 s[16:17], s[0:1], 0x40
	s_mov_b32 s3, 0
	s_mov_b32 s2, ttmp9
	s_mov_b32 s12, s3
	s_wait_kmcnt 0x0
	s_mov_b32 s13, s9
	s_delay_alu instid0(SALU_CYCLE_1)
	s_cmp_lg_u64 s[12:13], 0
	s_cbranch_scc0 .LBB6_23
; %bb.1:
	s_ashr_i32 s12, s9, 31
	s_mov_b32 s23, s3
	s_mov_b32 s13, s12
	;; [unrolled: 1-line block ×3, first 2 shown]
	s_add_nc_u64 s[14:15], s[8:9], s[12:13]
	s_delay_alu instid0(SALU_CYCLE_1) | instskip(NEXT) | instid1(SALU_CYCLE_1)
	s_xor_b64 s[14:15], s[14:15], s[12:13]
	s_cvt_f32_u32 s18, s14
	s_cvt_f32_u32 s19, s15
	s_sub_nc_u64 s[20:21], 0, s[14:15]
	s_delay_alu instid0(SALU_CYCLE_2) | instskip(NEXT) | instid1(SALU_CYCLE_3)
	s_fmamk_f32 s18, s19, 0x4f800000, s18
	v_s_rcp_f32 s18, s18
	s_delay_alu instid0(TRANS32_DEP_1) | instskip(SKIP_1) | instid1(SALU_CYCLE_2)
	s_mul_f32 s18, s18, 0x5f7ffffc
	s_wait_alu 0xfffe
	s_mul_f32 s19, s18, 0x2f800000
	s_wait_alu 0xfffe
	s_delay_alu instid0(SALU_CYCLE_2) | instskip(SKIP_1) | instid1(SALU_CYCLE_2)
	s_trunc_f32 s19, s19
	s_wait_alu 0xfffe
	s_fmamk_f32 s18, s19, 0xcf800000, s18
	s_cvt_u32_f32 s19, s19
	s_wait_alu 0xfffe
	s_delay_alu instid0(SALU_CYCLE_1) | instskip(SKIP_1) | instid1(SALU_CYCLE_2)
	s_cvt_u32_f32 s18, s18
	s_wait_alu 0xfffe
	s_mul_u64 s[24:25], s[20:21], s[18:19]
	s_delay_alu instid0(SALU_CYCLE_1)
	s_mul_hi_u32 s29, s18, s25
	s_mul_i32 s28, s18, s25
	s_mul_hi_u32 s22, s18, s24
	s_mul_i32 s30, s19, s24
	s_add_nc_u64 s[22:23], s[22:23], s[28:29]
	s_mul_hi_u32 s26, s19, s24
	s_mul_hi_u32 s31, s19, s25
	s_add_co_u32 s22, s22, s30
	s_add_co_ci_u32 s26, s23, s26
	s_mul_i32 s24, s19, s25
	s_add_co_ci_u32 s25, s31, 0
	s_delay_alu instid0(SALU_CYCLE_1) | instskip(SKIP_3) | instid1(SALU_CYCLE_1)
	s_add_nc_u64 s[22:23], s[26:27], s[24:25]
	s_mov_b32 s25, s3
	s_add_co_u32 s18, s18, s22
	s_cselect_b32 s22, -1, 0
	s_cmp_lg_u32 s22, 0
	s_add_co_ci_u32 s19, s19, s23
	s_mov_b32 s23, s3
	s_wait_alu 0xfffe
	s_mul_u64 s[20:21], s[20:21], s[18:19]
	s_delay_alu instid0(SALU_CYCLE_1)
	s_mul_hi_u32 s27, s18, s21
	s_mul_i32 s26, s18, s21
	s_mul_hi_u32 s22, s18, s20
	s_mul_i32 s28, s19, s20
	s_add_nc_u64 s[22:23], s[22:23], s[26:27]
	s_mul_hi_u32 s24, s19, s20
	s_mul_hi_u32 s29, s19, s21
	s_mul_i32 s20, s19, s21
	s_add_co_u32 s21, s22, s28
	s_add_co_ci_u32 s24, s23, s24
	s_add_co_ci_u32 s21, s29, 0
	s_add_nc_u64 s[22:23], s[2:3], 0
	s_add_nc_u64 s[20:21], s[24:25], s[20:21]
	s_delay_alu instid0(SALU_CYCLE_1)
	s_add_co_u32 s20, s18, s20
	s_cselect_b32 s18, -1, 0
	s_wait_alu 0xfffe
	s_cmp_lg_u32 s18, 0
	s_add_co_ci_u32 s26, s19, s21
	s_xor_b64 s[18:19], s[22:23], 0
	s_mov_b32 s21, s3
	s_wait_alu 0xfffe
	s_mul_hi_u32 s23, s18, s26
	s_mul_i32 s22, s18, s26
	s_mul_hi_u32 s24, s18, s20
	s_mul_hi_u32 s28, s19, s20
	s_mul_i32 s20, s19, s20
	s_add_nc_u64 s[22:23], s[24:25], s[22:23]
	s_mul_hi_u32 s27, s19, s26
	s_add_co_u32 s20, s22, s20
	s_add_co_ci_u32 s20, s23, s28
	s_mul_i32 s24, s19, s26
	s_add_co_ci_u32 s25, s27, 0
	s_delay_alu instid0(SALU_CYCLE_1) | instskip(NEXT) | instid1(SALU_CYCLE_1)
	s_add_nc_u64 s[20:21], s[20:21], s[24:25]
	s_mul_u64 s[22:23], s[14:15], s[20:21]
	s_delay_alu instid0(SALU_CYCLE_1)
	s_sub_co_u32 s18, s18, s22
	s_cselect_b32 s22, -1, 0
	s_sub_co_i32 s24, s19, s23
	s_cmp_lg_u32 s22, 0
	s_sub_co_ci_u32 s24, s24, s15
	s_wait_alu 0xfffe
	s_sub_co_u32 s25, s18, s14
	s_cselect_b32 s26, -1, 0
	s_delay_alu instid0(SALU_CYCLE_1) | instskip(SKIP_1) | instid1(SALU_CYCLE_1)
	s_cmp_lg_u32 s26, 0
	s_sub_co_ci_u32 s24, s24, 0
	s_cmp_ge_u32 s24, s15
	s_cselect_b32 s26, -1, 0
	s_cmp_ge_u32 s25, s14
	s_cselect_b32 s27, -1, 0
	s_cmp_eq_u32 s24, s15
	s_add_nc_u64 s[24:25], s[20:21], 1
	s_cselect_b32 s28, s27, s26
	s_add_nc_u64 s[26:27], s[20:21], 2
	s_cmp_lg_u32 s28, 0
	s_cselect_b32 s24, s26, s24
	s_cselect_b32 s25, s27, s25
	s_cmp_lg_u32 s22, 0
	s_sub_co_ci_u32 s19, s19, s23
	s_wait_alu 0xfffe
	s_cmp_ge_u32 s19, s15
	s_cselect_b32 s22, -1, 0
	s_cmp_ge_u32 s18, s14
	s_cselect_b32 s14, -1, 0
	s_cmp_eq_u32 s19, s15
	s_cselect_b32 s14, s14, s22
	s_delay_alu instid0(SALU_CYCLE_1) | instskip(SKIP_3) | instid1(SALU_CYCLE_1)
	s_cmp_lg_u32 s14, 0
	s_cselect_b32 s15, s25, s21
	s_cselect_b32 s14, s24, s20
	s_xor_b64 s[12:13], 0, s[12:13]
	s_xor_b64 s[14:15], s[14:15], s[12:13]
	s_delay_alu instid0(SALU_CYCLE_1) | instskip(SKIP_1) | instid1(SALU_CYCLE_1)
	s_sub_nc_u64 s[18:19], s[14:15], s[12:13]
	s_mov_b32 s12, s3
	s_and_not1_b32 vcc_lo, exec_lo, s12
	s_cbranch_vccnz .LBB6_3
.LBB6_2:
	v_cvt_f32_u32_e32 v1, s8
	s_sub_co_i32 s13, 0, s8
	s_mov_b32 s19, 0
	s_delay_alu instid0(VALU_DEP_1) | instskip(NEXT) | instid1(TRANS32_DEP_1)
	v_rcp_iflag_f32_e32 v1, v1
	v_mul_f32_e32 v1, 0x4f7ffffe, v1
	s_delay_alu instid0(VALU_DEP_1) | instskip(NEXT) | instid1(VALU_DEP_1)
	v_cvt_u32_f32_e32 v1, v1
	v_readfirstlane_b32 s12, v1
	s_mul_i32 s13, s13, s12
	s_delay_alu instid0(SALU_CYCLE_1) | instskip(NEXT) | instid1(SALU_CYCLE_1)
	s_mul_hi_u32 s13, s12, s13
	s_add_co_i32 s12, s12, s13
	s_delay_alu instid0(SALU_CYCLE_1) | instskip(NEXT) | instid1(SALU_CYCLE_1)
	s_mul_hi_u32 s12, s2, s12
	s_mul_i32 s13, s12, s8
	s_add_co_i32 s14, s12, 1
	s_sub_co_i32 s13, s2, s13
	s_delay_alu instid0(SALU_CYCLE_1)
	s_sub_co_i32 s15, s13, s8
	s_cmp_ge_u32 s13, s8
	s_cselect_b32 s12, s14, s12
	s_cselect_b32 s13, s15, s13
	s_add_co_i32 s14, s12, 1
	s_cmp_ge_u32 s13, s8
	s_cselect_b32 s18, s14, s12
.LBB6_3:
	s_wait_alu 0xfffe
	s_mul_u64 s[8:9], s[18:19], s[8:9]
	s_wait_alu 0xfffe
	s_sub_nc_u64 s[8:9], s[2:3], s[8:9]
	s_wait_alu 0xfffe
	s_or_b64 s[12:13], s[8:9], s[4:5]
	s_mov_b32 s12, 0
	s_delay_alu instid0(SALU_CYCLE_1)
	s_cmp_lg_u64 s[12:13], 0
	s_cbranch_scc0 .LBB6_24
; %bb.4:
	s_ashr_i32 s14, s5, 31
	s_mov_b32 s27, s12
	s_mov_b32 s15, s14
	;; [unrolled: 1-line block ×3, first 2 shown]
	s_add_nc_u64 s[20:21], s[4:5], s[14:15]
	s_delay_alu instid0(SALU_CYCLE_1) | instskip(NEXT) | instid1(SALU_CYCLE_1)
	s_xor_b64 s[20:21], s[20:21], s[14:15]
	s_cvt_f32_u32 s13, s20
	s_cvt_f32_u32 s22, s21
	s_sub_nc_u64 s[24:25], 0, s[20:21]
	s_delay_alu instid0(SALU_CYCLE_2) | instskip(NEXT) | instid1(SALU_CYCLE_3)
	s_fmamk_f32 s13, s22, 0x4f800000, s13
	v_s_rcp_f32 s13, s13
	s_delay_alu instid0(TRANS32_DEP_1) | instskip(SKIP_1) | instid1(SALU_CYCLE_2)
	s_mul_f32 s13, s13, 0x5f7ffffc
	s_wait_alu 0xfffe
	s_mul_f32 s22, s13, 0x2f800000
	s_delay_alu instid0(SALU_CYCLE_3) | instskip(NEXT) | instid1(SALU_CYCLE_3)
	s_trunc_f32 s22, s22
	s_fmamk_f32 s13, s22, 0xcf800000, s13
	s_cvt_u32_f32 s23, s22
	s_wait_alu 0xfffe
	s_delay_alu instid0(SALU_CYCLE_1) | instskip(NEXT) | instid1(SALU_CYCLE_3)
	s_cvt_u32_f32 s22, s13
	s_mul_u64 s[28:29], s[24:25], s[22:23]
	s_delay_alu instid0(SALU_CYCLE_1)
	s_mul_hi_u32 s35, s22, s29
	s_mul_i32 s34, s22, s29
	s_mul_hi_u32 s26, s22, s28
	s_mul_i32 s30, s23, s28
	s_add_nc_u64 s[26:27], s[26:27], s[34:35]
	s_mul_hi_u32 s13, s23, s28
	s_mul_hi_u32 s33, s23, s29
	s_add_co_u32 s26, s26, s30
	s_wait_alu 0xfffe
	s_add_co_ci_u32 s30, s27, s13
	s_mul_i32 s28, s23, s29
	s_add_co_ci_u32 s29, s33, 0
	s_delay_alu instid0(SALU_CYCLE_1)
	s_add_nc_u64 s[26:27], s[30:31], s[28:29]
	s_mov_b32 s29, s12
	s_add_co_u32 s22, s22, s26
	s_cselect_b32 s13, -1, 0
	s_wait_alu 0xfffe
	s_cmp_lg_u32 s13, 0
	s_add_co_ci_u32 s23, s23, s27
	s_mov_b32 s27, s12
	s_mul_u64 s[24:25], s[24:25], s[22:23]
	s_delay_alu instid0(SALU_CYCLE_1)
	s_mul_hi_u32 s31, s22, s25
	s_mul_i32 s30, s22, s25
	s_mul_hi_u32 s26, s22, s24
	s_mul_i32 s28, s23, s24
	s_add_nc_u64 s[26:27], s[26:27], s[30:31]
	s_mul_hi_u32 s13, s23, s24
	s_mul_hi_u32 s33, s23, s25
	s_mul_i32 s24, s23, s25
	s_add_co_u32 s25, s26, s28
	s_wait_alu 0xfffe
	s_add_co_ci_u32 s28, s27, s13
	s_add_co_ci_u32 s25, s33, 0
	s_mov_b32 s27, s12
	s_add_nc_u64 s[24:25], s[28:29], s[24:25]
	s_delay_alu instid0(SALU_CYCLE_1) | instskip(SKIP_1) | instid1(SALU_CYCLE_1)
	s_add_co_u32 s13, s22, s24
	s_cselect_b32 s22, -1, 0
	s_cmp_lg_u32 s22, 0
	s_add_co_ci_u32 s28, s23, s25
	s_ashr_i32 s22, s9, 31
	s_delay_alu instid0(SALU_CYCLE_1) | instskip(NEXT) | instid1(SALU_CYCLE_1)
	s_mov_b32 s23, s22
	s_add_nc_u64 s[24:25], s[8:9], s[22:23]
	s_delay_alu instid0(SALU_CYCLE_1) | instskip(NEXT) | instid1(SALU_CYCLE_1)
	s_xor_b64 s[24:25], s[24:25], s[22:23]
	s_mul_hi_u32 s31, s24, s28
	s_mul_i32 s30, s24, s28
	s_wait_alu 0xfffe
	s_mul_hi_u32 s26, s24, s13
	s_mul_hi_u32 s34, s25, s13
	s_mul_i32 s13, s25, s13
	s_add_nc_u64 s[26:27], s[26:27], s[30:31]
	s_mul_hi_u32 s33, s25, s28
	s_wait_alu 0xfffe
	s_add_co_u32 s13, s26, s13
	s_mul_i32 s30, s25, s28
	s_add_co_ci_u32 s28, s27, s34
	s_add_co_ci_u32 s31, s33, 0
	s_delay_alu instid0(SALU_CYCLE_1) | instskip(NEXT) | instid1(SALU_CYCLE_1)
	s_add_nc_u64 s[26:27], s[28:29], s[30:31]
	s_mul_u64 s[28:29], s[20:21], s[26:27]
	s_delay_alu instid0(SALU_CYCLE_1)
	s_sub_co_u32 s13, s24, s28
	s_cselect_b32 s24, -1, 0
	s_sub_co_i32 s28, s25, s29
	s_cmp_lg_u32 s24, 0
	s_sub_co_ci_u32 s28, s28, s21
	s_wait_alu 0xfffe
	s_sub_co_u32 s30, s13, s20
	s_cselect_b32 s31, -1, 0
	s_delay_alu instid0(SALU_CYCLE_1) | instskip(SKIP_1) | instid1(SALU_CYCLE_1)
	s_cmp_lg_u32 s31, 0
	s_sub_co_ci_u32 s28, s28, 0
	s_cmp_ge_u32 s28, s21
	s_cselect_b32 s33, -1, 0
	s_cmp_ge_u32 s30, s20
	s_add_nc_u64 s[30:31], s[26:27], 1
	s_cselect_b32 s34, -1, 0
	s_cmp_eq_u32 s28, s21
	s_cselect_b32 s28, s34, s33
	s_add_nc_u64 s[34:35], s[26:27], 2
	s_cmp_lg_u32 s28, 0
	s_cselect_b32 s28, s34, s30
	s_cselect_b32 s30, s35, s31
	s_cmp_lg_u32 s24, 0
	s_sub_co_ci_u32 s24, s25, s29
	s_delay_alu instid0(SALU_CYCLE_1)
	s_cmp_ge_u32 s24, s21
	s_cselect_b32 s25, -1, 0
	s_cmp_ge_u32 s13, s20
	s_cselect_b32 s13, -1, 0
	s_cmp_eq_u32 s24, s21
	s_wait_alu 0xfffe
	s_cselect_b32 s13, s13, s25
	s_wait_alu 0xfffe
	s_cmp_lg_u32 s13, 0
	s_cselect_b32 s21, s30, s27
	s_cselect_b32 s20, s28, s26
	s_xor_b64 s[14:15], s[22:23], s[14:15]
	s_delay_alu instid0(SALU_CYCLE_1) | instskip(NEXT) | instid1(SALU_CYCLE_1)
	s_xor_b64 s[20:21], s[20:21], s[14:15]
	s_sub_nc_u64 s[20:21], s[20:21], s[14:15]
	s_and_not1_b32 vcc_lo, exec_lo, s12
	s_cbranch_vccnz .LBB6_6
.LBB6_5:
	v_cvt_f32_u32_e32 v1, s4
	s_sub_co_i32 s13, 0, s4
	s_mov_b32 s21, 0
	s_delay_alu instid0(VALU_DEP_1) | instskip(NEXT) | instid1(TRANS32_DEP_1)
	v_rcp_iflag_f32_e32 v1, v1
	v_mul_f32_e32 v1, 0x4f7ffffe, v1
	s_delay_alu instid0(VALU_DEP_1) | instskip(NEXT) | instid1(VALU_DEP_1)
	v_cvt_u32_f32_e32 v1, v1
	v_readfirstlane_b32 s12, v1
	s_wait_alu 0xfffe
	s_mul_i32 s13, s13, s12
	s_wait_alu 0xfffe
	s_mul_hi_u32 s13, s12, s13
	s_wait_alu 0xfffe
	s_add_co_i32 s12, s12, s13
	s_wait_alu 0xfffe
	s_mul_hi_u32 s12, s8, s12
	s_wait_alu 0xfffe
	s_mul_i32 s13, s12, s4
	s_add_co_i32 s14, s12, 1
	s_wait_alu 0xfffe
	s_sub_co_i32 s13, s8, s13
	s_wait_alu 0xfffe
	s_sub_co_i32 s15, s13, s4
	s_cmp_ge_u32 s13, s4
	s_cselect_b32 s12, s14, s12
	s_cselect_b32 s13, s15, s13
	s_wait_alu 0xfffe
	s_add_co_i32 s14, s12, 1
	s_cmp_ge_u32 s13, s4
	s_cselect_b32 s20, s14, s12
.LBB6_6:
	s_clause 0x2
	s_load_b128 s[12:15], s[0:1], 0x0
	s_load_b64 s[22:23], s[0:1], 0x10
	s_load_b32 s1, s[0:1], 0x54
	v_mov_b32_e32 v1, 0
	s_mov_b32 s24, exec_lo
	s_delay_alu instid0(VALU_DEP_1)
	v_cmpx_gt_i64_e64 s[6:7], v[0:1]
	s_cbranch_execz .LBB6_14
; %bb.7:
	s_mul_u64 s[10:11], s[18:19], s[10:11]
	s_mul_u64 s[26:27], s[20:21], s[6:7]
	s_lshl_b64 s[10:11], s[10:11], 2
	v_dual_mov_b32 v5, 0 :: v_dual_lshlrev_b32 v4, 2, v0
	s_lshl_b64 s[26:27], s[26:27], 2
	s_wait_kmcnt 0x0
	s_add_nc_u64 s[10:11], s[14:15], s[10:11]
	s_mul_u64 s[4:5], s[20:21], s[4:5]
	s_add_nc_u64 s[10:11], s[10:11], s[26:27]
	s_mul_u64 s[16:17], s[18:19], s[16:17]
	s_wait_alu 0xfffe
	s_sub_nc_u64 s[4:5], s[8:9], s[4:5]
	v_add_co_u32 v2, s0, s10, v4
	s_lshl_b64 s[8:9], s[16:17], 2
	s_wait_alu 0xfffe
	s_mul_u64 s[4:5], s[4:5], s[6:7]
	v_add_co_ci_u32_e64 v3, null, s11, 0, s0
	v_mov_b32_e32 v6, v5
	s_lshl_b64 s[14:15], s[6:7], 2
	s_add_nc_u64 s[6:7], s[22:23], s[8:9]
	s_wait_alu 0xfffe
	s_lshl_b64 s[4:5], s[4:5], 2
	s_and_b32 s0, s1, 0xffff
	s_add_nc_u64 s[14:15], s[10:11], s[14:15]
	s_mov_b32 s25, 0
	s_wait_alu 0xfffe
	s_add_nc_u64 s[4:5], s[6:7], s[4:5]
	s_lshl_b32 s6, s0, 2
	s_lshl_b32 s7, s0, 2
	s_branch .LBB6_10
.LBB6_8:                                ;   in Loop: Header=BB6_10 Depth=1
	s_wait_alu 0xfffe
	s_or_b32 exec_lo, exec_lo, s8
	s_delay_alu instid0(VALU_DEP_1)
	v_mov_b32_e32 v1, v6
.LBB6_9:                                ;   in Loop: Header=BB6_10 Depth=1
	s_wait_alu 0xfffe
	s_or_b32 exec_lo, exec_lo, s0
	v_add_co_u32 v2, vcc_lo, v2, s7
	s_wait_alu 0xfffd
	v_add_co_ci_u32_e64 v3, null, 0, v3, vcc_lo
	v_add_co_u32 v4, s0, v4, s6
	s_wait_alu 0xf1ff
	v_add_co_ci_u32_e64 v5, null, 0, v5, s0
	s_delay_alu instid0(VALU_DEP_3) | instskip(SKIP_2) | instid1(SALU_CYCLE_1)
	v_cmp_le_u64_e32 vcc_lo, s[14:15], v[2:3]
	v_mov_b32_e32 v6, v1
	s_or_b32 s25, vcc_lo, s25
	s_and_not1_b32 exec_lo, exec_lo, s25
	s_cbranch_execz .LBB6_13
.LBB6_10:                               ; =>This Inner Loop Header: Depth=1
	v_add_co_u32 v7, vcc_lo, s10, v4
	s_wait_alu 0xfffd
	v_add_co_ci_u32_e64 v8, null, s11, v5, vcc_lo
	s_wait_alu 0xfffe
	v_add_co_u32 v9, vcc_lo, s4, v4
	s_wait_alu 0xfffd
	v_add_co_ci_u32_e64 v10, null, s5, v5, vcc_lo
	global_load_b32 v1, v[7:8], off
	global_load_b32 v7, v[9:10], off
	s_mov_b32 s0, exec_lo
	s_wait_loadcnt 0x0
	v_sub_f32_e32 v7, v1, v7
	s_delay_alu instid0(VALU_DEP_1)
	v_and_b32_e32 v1, 0x7fffffff, v7
	v_cmpx_o_f32_e32 v7, v7
	s_cbranch_execz .LBB6_9
; %bb.11:                               ;   in Loop: Header=BB6_10 Depth=1
	s_mov_b32 s8, exec_lo
	v_cmpx_neq_f32_e32 0, v7
	s_cbranch_execz .LBB6_8
; %bb.12:                               ;   in Loop: Header=BB6_10 Depth=1
	v_add_f32_e32 v6, 1.0, v6
	s_branch .LBB6_8
.LBB6_13:
	s_or_b32 exec_lo, exec_lo, s25
.LBB6_14:
	s_delay_alu instid0(SALU_CYCLE_1) | instskip(SKIP_4) | instid1(VALU_DEP_1)
	s_or_b32 exec_lo, exec_lo, s24
	v_mbcnt_lo_u32_b32 v5, -1, 0
	s_mov_b32 s0, exec_lo
	s_barrier_signal -1
	s_barrier_wait -1
	v_lshl_or_b32 v2, v5, 2, 64
	v_cmp_gt_u32_e32 vcc_lo, 24, v5
	global_inv scope:SCOPE_SE
	ds_bpermute_b32 v4, v2, v1
	s_wait_alu 0xfffd
	v_cndmask_b32_e64 v3, 0, 8, vcc_lo
	v_cmp_gt_u32_e32 vcc_lo, 28, v5
	s_delay_alu instid0(VALU_DEP_2)
	v_add_lshl_u32 v3, v3, v5, 2
	s_wait_dscnt 0x0
	v_add_f32_e32 v4, v1, v4
	s_wait_alu 0xfffd
	v_cndmask_b32_e64 v1, 0, 4, vcc_lo
	v_cmp_gt_u32_e32 vcc_lo, 30, v5
	ds_bpermute_b32 v6, v3, v4
	v_add_lshl_u32 v1, v1, v5, 2
	s_wait_dscnt 0x0
	v_add_f32_e32 v6, v4, v6
	s_wait_alu 0xfffd
	v_cndmask_b32_e64 v4, 0, 2, vcc_lo
	v_cmp_ne_u32_e32 vcc_lo, 31, v5
	ds_bpermute_b32 v7, v1, v6
	v_add_lshl_u32 v4, v4, v5, 2
	s_wait_alu 0xfffd
	v_add_co_ci_u32_e64 v5, null, 0, v5, vcc_lo
	s_wait_dscnt 0x0
	s_delay_alu instid0(VALU_DEP_1)
	v_dual_add_f32 v6, v6, v7 :: v_dual_lshlrev_b32 v5, 2, v5
	ds_bpermute_b32 v7, v4, v6
	s_wait_dscnt 0x0
	v_dual_add_f32 v6, v6, v7 :: v_dual_and_b32 v7, 31, v0
	ds_bpermute_b32 v8, v5, v6
	v_cmpx_eq_u32_e32 0, v7
	s_cbranch_execz .LBB6_16
; %bb.15:
	s_wait_dscnt 0x0
	v_add_f32_e32 v6, v6, v8
	v_lshrrev_b32_e32 v8, 3, v0
	ds_store_b32 v8, v6
.LBB6_16:
	s_wait_alu 0xfffe
	s_or_b32 exec_lo, exec_lo, s0
	s_wait_kmcnt 0x0
	s_and_b32 s0, 0xffff, s1
	v_mov_b32_e32 v6, 0
	s_wait_alu 0xfffe
	s_lshr_b32 s0, s0, 5
	s_wait_loadcnt_dscnt 0x0
	s_wait_alu 0xfffe
	v_cmp_gt_u32_e32 vcc_lo, s0, v0
	s_barrier_signal -1
	s_barrier_wait -1
	global_inv scope:SCOPE_SE
	s_and_saveexec_b32 s0, vcc_lo
; %bb.17:
	v_lshlrev_b32_e32 v6, 2, v7
	ds_load_b32 v6, v6
; %bb.18:
	s_wait_alu 0xfffe
	s_or_b32 exec_lo, exec_lo, s0
	s_delay_alu instid0(SALU_CYCLE_1)
	s_mov_b32 s0, exec_lo
	v_cmpx_gt_u32_e32 32, v0
	s_cbranch_execz .LBB6_20
; %bb.19:
	s_wait_dscnt 0x0
	ds_bpermute_b32 v2, v2, v6
	s_wait_dscnt 0x0
	v_add_f32_e32 v2, v6, v2
	ds_bpermute_b32 v3, v3, v2
	s_wait_dscnt 0x0
	v_add_f32_e32 v2, v2, v3
	;; [unrolled: 3-line block ×5, first 2 shown]
.LBB6_20:
	s_wait_alu 0xfffe
	s_or_b32 exec_lo, exec_lo, s0
	s_delay_alu instid0(SALU_CYCLE_1)
	s_mov_b32 s0, exec_lo
	v_cmpx_eq_u32_e32 0, v0
	s_cbranch_execz .LBB6_22
; %bb.21:
	v_mov_b32_e32 v0, 0
	s_lshl_b64 s[0:1], s[2:3], 2
	s_wait_alu 0xfffe
	s_add_nc_u64 s[0:1], s[12:13], s[0:1]
	s_wait_dscnt 0x0
	global_store_b32 v0, v6, s[0:1]
.LBB6_22:
	s_endpgm
.LBB6_23:
                                        ; implicit-def: $sgpr18_sgpr19
	s_branch .LBB6_2
.LBB6_24:
                                        ; implicit-def: $sgpr20_sgpr21
	s_branch .LBB6_5
	.section	.rodata,"a",@progbits
	.p2align	6, 0x0
	.amdhsa_kernel _ZN2at6native12_GLOBAL__N_122cdist_kernel_cuda_implIfNS1_5distsIfE4zeroEEEvPT_PKS6_S9_S6_lllll
		.amdhsa_group_segment_fixed_size 1024
		.amdhsa_private_segment_fixed_size 0
		.amdhsa_kernarg_size 328
		.amdhsa_user_sgpr_count 2
		.amdhsa_user_sgpr_dispatch_ptr 0
		.amdhsa_user_sgpr_queue_ptr 0
		.amdhsa_user_sgpr_kernarg_segment_ptr 1
		.amdhsa_user_sgpr_dispatch_id 0
		.amdhsa_user_sgpr_private_segment_size 0
		.amdhsa_wavefront_size32 1
		.amdhsa_uses_dynamic_stack 0
		.amdhsa_enable_private_segment 0
		.amdhsa_system_sgpr_workgroup_id_x 1
		.amdhsa_system_sgpr_workgroup_id_y 0
		.amdhsa_system_sgpr_workgroup_id_z 0
		.amdhsa_system_sgpr_workgroup_info 0
		.amdhsa_system_vgpr_workitem_id 0
		.amdhsa_next_free_vgpr 11
		.amdhsa_next_free_sgpr 36
		.amdhsa_reserve_vcc 1
		.amdhsa_float_round_mode_32 0
		.amdhsa_float_round_mode_16_64 0
		.amdhsa_float_denorm_mode_32 3
		.amdhsa_float_denorm_mode_16_64 3
		.amdhsa_fp16_overflow 0
		.amdhsa_workgroup_processor_mode 1
		.amdhsa_memory_ordered 1
		.amdhsa_forward_progress 1
		.amdhsa_inst_pref_size 19
		.amdhsa_round_robin_scheduling 0
		.amdhsa_exception_fp_ieee_invalid_op 0
		.amdhsa_exception_fp_denorm_src 0
		.amdhsa_exception_fp_ieee_div_zero 0
		.amdhsa_exception_fp_ieee_overflow 0
		.amdhsa_exception_fp_ieee_underflow 0
		.amdhsa_exception_fp_ieee_inexact 0
		.amdhsa_exception_int_div_zero 0
	.end_amdhsa_kernel
	.section	.text._ZN2at6native12_GLOBAL__N_122cdist_kernel_cuda_implIfNS1_5distsIfE4zeroEEEvPT_PKS6_S9_S6_lllll,"axG",@progbits,_ZN2at6native12_GLOBAL__N_122cdist_kernel_cuda_implIfNS1_5distsIfE4zeroEEEvPT_PKS6_S9_S6_lllll,comdat
.Lfunc_end6:
	.size	_ZN2at6native12_GLOBAL__N_122cdist_kernel_cuda_implIfNS1_5distsIfE4zeroEEEvPT_PKS6_S9_S6_lllll, .Lfunc_end6-_ZN2at6native12_GLOBAL__N_122cdist_kernel_cuda_implIfNS1_5distsIfE4zeroEEEvPT_PKS6_S9_S6_lllll
                                        ; -- End function
	.set _ZN2at6native12_GLOBAL__N_122cdist_kernel_cuda_implIfNS1_5distsIfE4zeroEEEvPT_PKS6_S9_S6_lllll.num_vgpr, 11
	.set _ZN2at6native12_GLOBAL__N_122cdist_kernel_cuda_implIfNS1_5distsIfE4zeroEEEvPT_PKS6_S9_S6_lllll.num_agpr, 0
	.set _ZN2at6native12_GLOBAL__N_122cdist_kernel_cuda_implIfNS1_5distsIfE4zeroEEEvPT_PKS6_S9_S6_lllll.numbered_sgpr, 36
	.set _ZN2at6native12_GLOBAL__N_122cdist_kernel_cuda_implIfNS1_5distsIfE4zeroEEEvPT_PKS6_S9_S6_lllll.num_named_barrier, 0
	.set _ZN2at6native12_GLOBAL__N_122cdist_kernel_cuda_implIfNS1_5distsIfE4zeroEEEvPT_PKS6_S9_S6_lllll.private_seg_size, 0
	.set _ZN2at6native12_GLOBAL__N_122cdist_kernel_cuda_implIfNS1_5distsIfE4zeroEEEvPT_PKS6_S9_S6_lllll.uses_vcc, 1
	.set _ZN2at6native12_GLOBAL__N_122cdist_kernel_cuda_implIfNS1_5distsIfE4zeroEEEvPT_PKS6_S9_S6_lllll.uses_flat_scratch, 0
	.set _ZN2at6native12_GLOBAL__N_122cdist_kernel_cuda_implIfNS1_5distsIfE4zeroEEEvPT_PKS6_S9_S6_lllll.has_dyn_sized_stack, 0
	.set _ZN2at6native12_GLOBAL__N_122cdist_kernel_cuda_implIfNS1_5distsIfE4zeroEEEvPT_PKS6_S9_S6_lllll.has_recursion, 0
	.set _ZN2at6native12_GLOBAL__N_122cdist_kernel_cuda_implIfNS1_5distsIfE4zeroEEEvPT_PKS6_S9_S6_lllll.has_indirect_call, 0
	.section	.AMDGPU.csdata,"",@progbits
; Kernel info:
; codeLenInByte = 2328
; TotalNumSgprs: 38
; NumVgprs: 11
; ScratchSize: 0
; MemoryBound: 0
; FloatMode: 240
; IeeeMode: 1
; LDSByteSize: 1024 bytes/workgroup (compile time only)
; SGPRBlocks: 0
; VGPRBlocks: 1
; NumSGPRsForWavesPerEU: 38
; NumVGPRsForWavesPerEU: 11
; Occupancy: 16
; WaveLimiterHint : 0
; COMPUTE_PGM_RSRC2:SCRATCH_EN: 0
; COMPUTE_PGM_RSRC2:USER_SGPR: 2
; COMPUTE_PGM_RSRC2:TRAP_HANDLER: 0
; COMPUTE_PGM_RSRC2:TGID_X_EN: 1
; COMPUTE_PGM_RSRC2:TGID_Y_EN: 0
; COMPUTE_PGM_RSRC2:TGID_Z_EN: 0
; COMPUTE_PGM_RSRC2:TIDIG_COMP_CNT: 0
	.section	.text._ZN2at6native12_GLOBAL__N_122cdist_kernel_cuda_implIfNS1_5distsIfE3oneEEEvPT_PKS6_S9_S6_lllll,"axG",@progbits,_ZN2at6native12_GLOBAL__N_122cdist_kernel_cuda_implIfNS1_5distsIfE3oneEEEvPT_PKS6_S9_S6_lllll,comdat
	.globl	_ZN2at6native12_GLOBAL__N_122cdist_kernel_cuda_implIfNS1_5distsIfE3oneEEEvPT_PKS6_S9_S6_lllll ; -- Begin function _ZN2at6native12_GLOBAL__N_122cdist_kernel_cuda_implIfNS1_5distsIfE3oneEEEvPT_PKS6_S9_S6_lllll
	.p2align	8
	.type	_ZN2at6native12_GLOBAL__N_122cdist_kernel_cuda_implIfNS1_5distsIfE3oneEEEvPT_PKS6_S9_S6_lllll,@function
_ZN2at6native12_GLOBAL__N_122cdist_kernel_cuda_implIfNS1_5distsIfE3oneEEEvPT_PKS6_S9_S6_lllll: ; @_ZN2at6native12_GLOBAL__N_122cdist_kernel_cuda_implIfNS1_5distsIfE3oneEEEvPT_PKS6_S9_S6_lllll
; %bb.0:
	s_clause 0x1
	s_load_b256 s[4:11], s[0:1], 0x20
	s_load_b64 s[16:17], s[0:1], 0x40
	s_mov_b32 s3, 0
	s_mov_b32 s2, ttmp9
	s_mov_b32 s12, s3
	s_wait_kmcnt 0x0
	s_mov_b32 s13, s9
	s_delay_alu instid0(SALU_CYCLE_1)
	s_cmp_lg_u64 s[12:13], 0
	s_cbranch_scc0 .LBB7_19
; %bb.1:
	s_ashr_i32 s12, s9, 31
	s_mov_b32 s23, s3
	s_mov_b32 s13, s12
	s_mov_b32 s27, s3
	s_add_nc_u64 s[14:15], s[8:9], s[12:13]
	s_delay_alu instid0(SALU_CYCLE_1) | instskip(NEXT) | instid1(SALU_CYCLE_1)
	s_xor_b64 s[14:15], s[14:15], s[12:13]
	s_cvt_f32_u32 s18, s14
	s_cvt_f32_u32 s19, s15
	s_sub_nc_u64 s[20:21], 0, s[14:15]
	s_delay_alu instid0(SALU_CYCLE_2) | instskip(NEXT) | instid1(SALU_CYCLE_3)
	s_fmamk_f32 s18, s19, 0x4f800000, s18
	v_s_rcp_f32 s18, s18
	s_delay_alu instid0(TRANS32_DEP_1) | instskip(SKIP_1) | instid1(SALU_CYCLE_2)
	s_mul_f32 s18, s18, 0x5f7ffffc
	s_wait_alu 0xfffe
	s_mul_f32 s19, s18, 0x2f800000
	s_wait_alu 0xfffe
	s_delay_alu instid0(SALU_CYCLE_2) | instskip(SKIP_1) | instid1(SALU_CYCLE_2)
	s_trunc_f32 s19, s19
	s_wait_alu 0xfffe
	s_fmamk_f32 s18, s19, 0xcf800000, s18
	s_cvt_u32_f32 s19, s19
	s_wait_alu 0xfffe
	s_delay_alu instid0(SALU_CYCLE_1) | instskip(SKIP_1) | instid1(SALU_CYCLE_2)
	s_cvt_u32_f32 s18, s18
	s_wait_alu 0xfffe
	s_mul_u64 s[24:25], s[20:21], s[18:19]
	s_delay_alu instid0(SALU_CYCLE_1)
	s_mul_hi_u32 s29, s18, s25
	s_mul_i32 s28, s18, s25
	s_mul_hi_u32 s22, s18, s24
	s_mul_i32 s30, s19, s24
	s_add_nc_u64 s[22:23], s[22:23], s[28:29]
	s_mul_hi_u32 s26, s19, s24
	s_mul_hi_u32 s31, s19, s25
	s_add_co_u32 s22, s22, s30
	s_add_co_ci_u32 s26, s23, s26
	s_mul_i32 s24, s19, s25
	s_add_co_ci_u32 s25, s31, 0
	s_delay_alu instid0(SALU_CYCLE_1) | instskip(SKIP_3) | instid1(SALU_CYCLE_1)
	s_add_nc_u64 s[22:23], s[26:27], s[24:25]
	s_mov_b32 s25, s3
	s_add_co_u32 s18, s18, s22
	s_cselect_b32 s22, -1, 0
	s_cmp_lg_u32 s22, 0
	s_add_co_ci_u32 s19, s19, s23
	s_mov_b32 s23, s3
	s_wait_alu 0xfffe
	s_mul_u64 s[20:21], s[20:21], s[18:19]
	s_delay_alu instid0(SALU_CYCLE_1)
	s_mul_hi_u32 s27, s18, s21
	s_mul_i32 s26, s18, s21
	s_mul_hi_u32 s22, s18, s20
	s_mul_i32 s28, s19, s20
	s_add_nc_u64 s[22:23], s[22:23], s[26:27]
	s_mul_hi_u32 s24, s19, s20
	s_mul_hi_u32 s29, s19, s21
	s_mul_i32 s20, s19, s21
	s_add_co_u32 s21, s22, s28
	s_add_co_ci_u32 s24, s23, s24
	s_add_co_ci_u32 s21, s29, 0
	s_add_nc_u64 s[22:23], s[2:3], 0
	s_add_nc_u64 s[20:21], s[24:25], s[20:21]
	s_delay_alu instid0(SALU_CYCLE_1)
	s_add_co_u32 s20, s18, s20
	s_cselect_b32 s18, -1, 0
	s_wait_alu 0xfffe
	s_cmp_lg_u32 s18, 0
	s_add_co_ci_u32 s26, s19, s21
	s_xor_b64 s[18:19], s[22:23], 0
	s_mov_b32 s21, s3
	s_wait_alu 0xfffe
	s_mul_hi_u32 s23, s18, s26
	s_mul_i32 s22, s18, s26
	s_mul_hi_u32 s24, s18, s20
	s_mul_hi_u32 s28, s19, s20
	s_mul_i32 s20, s19, s20
	s_add_nc_u64 s[22:23], s[24:25], s[22:23]
	s_mul_hi_u32 s27, s19, s26
	s_add_co_u32 s20, s22, s20
	s_add_co_ci_u32 s20, s23, s28
	s_mul_i32 s24, s19, s26
	s_add_co_ci_u32 s25, s27, 0
	s_delay_alu instid0(SALU_CYCLE_1) | instskip(NEXT) | instid1(SALU_CYCLE_1)
	s_add_nc_u64 s[20:21], s[20:21], s[24:25]
	s_mul_u64 s[22:23], s[14:15], s[20:21]
	s_delay_alu instid0(SALU_CYCLE_1)
	s_sub_co_u32 s18, s18, s22
	s_cselect_b32 s22, -1, 0
	s_sub_co_i32 s24, s19, s23
	s_cmp_lg_u32 s22, 0
	s_sub_co_ci_u32 s24, s24, s15
	s_wait_alu 0xfffe
	s_sub_co_u32 s25, s18, s14
	s_cselect_b32 s26, -1, 0
	s_delay_alu instid0(SALU_CYCLE_1) | instskip(SKIP_1) | instid1(SALU_CYCLE_1)
	s_cmp_lg_u32 s26, 0
	s_sub_co_ci_u32 s24, s24, 0
	s_cmp_ge_u32 s24, s15
	s_cselect_b32 s26, -1, 0
	s_cmp_ge_u32 s25, s14
	s_cselect_b32 s27, -1, 0
	s_cmp_eq_u32 s24, s15
	s_add_nc_u64 s[24:25], s[20:21], 1
	s_cselect_b32 s28, s27, s26
	s_add_nc_u64 s[26:27], s[20:21], 2
	s_cmp_lg_u32 s28, 0
	s_cselect_b32 s24, s26, s24
	s_cselect_b32 s25, s27, s25
	s_cmp_lg_u32 s22, 0
	s_sub_co_ci_u32 s19, s19, s23
	s_wait_alu 0xfffe
	s_cmp_ge_u32 s19, s15
	s_cselect_b32 s22, -1, 0
	s_cmp_ge_u32 s18, s14
	s_cselect_b32 s14, -1, 0
	s_cmp_eq_u32 s19, s15
	s_cselect_b32 s14, s14, s22
	s_delay_alu instid0(SALU_CYCLE_1) | instskip(SKIP_3) | instid1(SALU_CYCLE_1)
	s_cmp_lg_u32 s14, 0
	s_cselect_b32 s15, s25, s21
	s_cselect_b32 s14, s24, s20
	s_xor_b64 s[12:13], 0, s[12:13]
	s_xor_b64 s[14:15], s[14:15], s[12:13]
	s_delay_alu instid0(SALU_CYCLE_1) | instskip(SKIP_1) | instid1(SALU_CYCLE_1)
	s_sub_nc_u64 s[18:19], s[14:15], s[12:13]
	s_mov_b32 s12, s3
	s_and_not1_b32 vcc_lo, exec_lo, s12
	s_cbranch_vccnz .LBB7_3
.LBB7_2:
	v_cvt_f32_u32_e32 v1, s8
	s_sub_co_i32 s13, 0, s8
	s_mov_b32 s19, 0
	s_delay_alu instid0(VALU_DEP_1) | instskip(NEXT) | instid1(TRANS32_DEP_1)
	v_rcp_iflag_f32_e32 v1, v1
	v_mul_f32_e32 v1, 0x4f7ffffe, v1
	s_delay_alu instid0(VALU_DEP_1) | instskip(NEXT) | instid1(VALU_DEP_1)
	v_cvt_u32_f32_e32 v1, v1
	v_readfirstlane_b32 s12, v1
	s_mul_i32 s13, s13, s12
	s_delay_alu instid0(SALU_CYCLE_1) | instskip(NEXT) | instid1(SALU_CYCLE_1)
	s_mul_hi_u32 s13, s12, s13
	s_add_co_i32 s12, s12, s13
	s_delay_alu instid0(SALU_CYCLE_1) | instskip(NEXT) | instid1(SALU_CYCLE_1)
	s_mul_hi_u32 s12, s2, s12
	s_mul_i32 s13, s12, s8
	s_add_co_i32 s14, s12, 1
	s_sub_co_i32 s13, s2, s13
	s_delay_alu instid0(SALU_CYCLE_1)
	s_sub_co_i32 s15, s13, s8
	s_cmp_ge_u32 s13, s8
	s_cselect_b32 s12, s14, s12
	s_cselect_b32 s13, s15, s13
	s_add_co_i32 s14, s12, 1
	s_cmp_ge_u32 s13, s8
	s_cselect_b32 s18, s14, s12
.LBB7_3:
	s_wait_alu 0xfffe
	s_mul_u64 s[8:9], s[18:19], s[8:9]
	s_wait_alu 0xfffe
	s_sub_nc_u64 s[8:9], s[2:3], s[8:9]
	s_wait_alu 0xfffe
	s_or_b64 s[12:13], s[8:9], s[4:5]
	s_mov_b32 s12, 0
	s_delay_alu instid0(SALU_CYCLE_1)
	s_cmp_lg_u64 s[12:13], 0
	s_cbranch_scc0 .LBB7_20
; %bb.4:
	s_ashr_i32 s14, s5, 31
	s_mov_b32 s27, s12
	s_mov_b32 s15, s14
	;; [unrolled: 1-line block ×3, first 2 shown]
	s_add_nc_u64 s[20:21], s[4:5], s[14:15]
	s_delay_alu instid0(SALU_CYCLE_1) | instskip(NEXT) | instid1(SALU_CYCLE_1)
	s_xor_b64 s[20:21], s[20:21], s[14:15]
	s_cvt_f32_u32 s13, s20
	s_cvt_f32_u32 s22, s21
	s_sub_nc_u64 s[24:25], 0, s[20:21]
	s_delay_alu instid0(SALU_CYCLE_2) | instskip(NEXT) | instid1(SALU_CYCLE_3)
	s_fmamk_f32 s13, s22, 0x4f800000, s13
	v_s_rcp_f32 s13, s13
	s_delay_alu instid0(TRANS32_DEP_1) | instskip(SKIP_1) | instid1(SALU_CYCLE_2)
	s_mul_f32 s13, s13, 0x5f7ffffc
	s_wait_alu 0xfffe
	s_mul_f32 s22, s13, 0x2f800000
	s_delay_alu instid0(SALU_CYCLE_3) | instskip(NEXT) | instid1(SALU_CYCLE_3)
	s_trunc_f32 s22, s22
	s_fmamk_f32 s13, s22, 0xcf800000, s13
	s_cvt_u32_f32 s23, s22
	s_wait_alu 0xfffe
	s_delay_alu instid0(SALU_CYCLE_1) | instskip(NEXT) | instid1(SALU_CYCLE_3)
	s_cvt_u32_f32 s22, s13
	s_mul_u64 s[28:29], s[24:25], s[22:23]
	s_delay_alu instid0(SALU_CYCLE_1)
	s_mul_hi_u32 s35, s22, s29
	s_mul_i32 s34, s22, s29
	s_mul_hi_u32 s26, s22, s28
	s_mul_i32 s30, s23, s28
	s_add_nc_u64 s[26:27], s[26:27], s[34:35]
	s_mul_hi_u32 s13, s23, s28
	s_mul_hi_u32 s33, s23, s29
	s_add_co_u32 s26, s26, s30
	s_wait_alu 0xfffe
	s_add_co_ci_u32 s30, s27, s13
	s_mul_i32 s28, s23, s29
	s_add_co_ci_u32 s29, s33, 0
	s_delay_alu instid0(SALU_CYCLE_1)
	s_add_nc_u64 s[26:27], s[30:31], s[28:29]
	s_mov_b32 s29, s12
	s_add_co_u32 s22, s22, s26
	s_cselect_b32 s13, -1, 0
	s_wait_alu 0xfffe
	s_cmp_lg_u32 s13, 0
	s_add_co_ci_u32 s23, s23, s27
	s_mov_b32 s27, s12
	s_mul_u64 s[24:25], s[24:25], s[22:23]
	s_delay_alu instid0(SALU_CYCLE_1)
	s_mul_hi_u32 s31, s22, s25
	s_mul_i32 s30, s22, s25
	s_mul_hi_u32 s26, s22, s24
	s_mul_i32 s28, s23, s24
	s_add_nc_u64 s[26:27], s[26:27], s[30:31]
	s_mul_hi_u32 s13, s23, s24
	s_mul_hi_u32 s33, s23, s25
	s_mul_i32 s24, s23, s25
	s_add_co_u32 s25, s26, s28
	s_wait_alu 0xfffe
	s_add_co_ci_u32 s28, s27, s13
	s_add_co_ci_u32 s25, s33, 0
	s_mov_b32 s27, s12
	s_add_nc_u64 s[24:25], s[28:29], s[24:25]
	s_delay_alu instid0(SALU_CYCLE_1) | instskip(SKIP_1) | instid1(SALU_CYCLE_1)
	s_add_co_u32 s13, s22, s24
	s_cselect_b32 s22, -1, 0
	s_cmp_lg_u32 s22, 0
	s_add_co_ci_u32 s28, s23, s25
	s_ashr_i32 s22, s9, 31
	s_delay_alu instid0(SALU_CYCLE_1) | instskip(NEXT) | instid1(SALU_CYCLE_1)
	s_mov_b32 s23, s22
	s_add_nc_u64 s[24:25], s[8:9], s[22:23]
	s_delay_alu instid0(SALU_CYCLE_1) | instskip(NEXT) | instid1(SALU_CYCLE_1)
	s_xor_b64 s[24:25], s[24:25], s[22:23]
	s_mul_hi_u32 s31, s24, s28
	s_mul_i32 s30, s24, s28
	s_wait_alu 0xfffe
	s_mul_hi_u32 s26, s24, s13
	s_mul_hi_u32 s34, s25, s13
	s_mul_i32 s13, s25, s13
	s_add_nc_u64 s[26:27], s[26:27], s[30:31]
	s_mul_hi_u32 s33, s25, s28
	s_wait_alu 0xfffe
	s_add_co_u32 s13, s26, s13
	s_mul_i32 s30, s25, s28
	s_add_co_ci_u32 s28, s27, s34
	s_add_co_ci_u32 s31, s33, 0
	s_delay_alu instid0(SALU_CYCLE_1) | instskip(NEXT) | instid1(SALU_CYCLE_1)
	s_add_nc_u64 s[26:27], s[28:29], s[30:31]
	s_mul_u64 s[28:29], s[20:21], s[26:27]
	s_delay_alu instid0(SALU_CYCLE_1)
	s_sub_co_u32 s13, s24, s28
	s_cselect_b32 s24, -1, 0
	s_sub_co_i32 s28, s25, s29
	s_cmp_lg_u32 s24, 0
	s_sub_co_ci_u32 s28, s28, s21
	s_wait_alu 0xfffe
	s_sub_co_u32 s30, s13, s20
	s_cselect_b32 s31, -1, 0
	s_delay_alu instid0(SALU_CYCLE_1) | instskip(SKIP_1) | instid1(SALU_CYCLE_1)
	s_cmp_lg_u32 s31, 0
	s_sub_co_ci_u32 s28, s28, 0
	s_cmp_ge_u32 s28, s21
	s_cselect_b32 s33, -1, 0
	s_cmp_ge_u32 s30, s20
	s_add_nc_u64 s[30:31], s[26:27], 1
	s_cselect_b32 s34, -1, 0
	s_cmp_eq_u32 s28, s21
	s_cselect_b32 s28, s34, s33
	s_add_nc_u64 s[34:35], s[26:27], 2
	s_cmp_lg_u32 s28, 0
	s_cselect_b32 s28, s34, s30
	s_cselect_b32 s30, s35, s31
	s_cmp_lg_u32 s24, 0
	s_sub_co_ci_u32 s24, s25, s29
	s_delay_alu instid0(SALU_CYCLE_1)
	s_cmp_ge_u32 s24, s21
	s_cselect_b32 s25, -1, 0
	s_cmp_ge_u32 s13, s20
	s_cselect_b32 s13, -1, 0
	s_cmp_eq_u32 s24, s21
	s_wait_alu 0xfffe
	s_cselect_b32 s13, s13, s25
	s_wait_alu 0xfffe
	s_cmp_lg_u32 s13, 0
	s_cselect_b32 s21, s30, s27
	s_cselect_b32 s20, s28, s26
	s_xor_b64 s[14:15], s[22:23], s[14:15]
	s_delay_alu instid0(SALU_CYCLE_1) | instskip(NEXT) | instid1(SALU_CYCLE_1)
	s_xor_b64 s[20:21], s[20:21], s[14:15]
	s_sub_nc_u64 s[20:21], s[20:21], s[14:15]
	s_and_not1_b32 vcc_lo, exec_lo, s12
	s_cbranch_vccnz .LBB7_6
.LBB7_5:
	v_cvt_f32_u32_e32 v1, s4
	s_sub_co_i32 s13, 0, s4
	s_mov_b32 s21, 0
	s_delay_alu instid0(VALU_DEP_1) | instskip(NEXT) | instid1(TRANS32_DEP_1)
	v_rcp_iflag_f32_e32 v1, v1
	v_mul_f32_e32 v1, 0x4f7ffffe, v1
	s_delay_alu instid0(VALU_DEP_1) | instskip(NEXT) | instid1(VALU_DEP_1)
	v_cvt_u32_f32_e32 v1, v1
	v_readfirstlane_b32 s12, v1
	s_wait_alu 0xfffe
	s_mul_i32 s13, s13, s12
	s_wait_alu 0xfffe
	s_mul_hi_u32 s13, s12, s13
	s_wait_alu 0xfffe
	s_add_co_i32 s12, s12, s13
	s_wait_alu 0xfffe
	s_mul_hi_u32 s12, s8, s12
	s_wait_alu 0xfffe
	s_mul_i32 s13, s12, s4
	s_add_co_i32 s14, s12, 1
	s_wait_alu 0xfffe
	s_sub_co_i32 s13, s8, s13
	s_wait_alu 0xfffe
	s_sub_co_i32 s15, s13, s4
	s_cmp_ge_u32 s13, s4
	s_cselect_b32 s12, s14, s12
	s_cselect_b32 s13, s15, s13
	s_wait_alu 0xfffe
	s_add_co_i32 s14, s12, 1
	s_cmp_ge_u32 s13, s4
	s_cselect_b32 s20, s14, s12
.LBB7_6:
	s_clause 0x2
	s_load_b128 s[12:15], s[0:1], 0x0
	s_load_b64 s[22:23], s[0:1], 0x10
	s_load_b32 s1, s[0:1], 0x54
	v_mov_b32_e32 v1, 0
	s_mov_b32 s24, exec_lo
	s_delay_alu instid0(VALU_DEP_1)
	v_cmpx_gt_i64_e64 s[6:7], v[0:1]
	s_cbranch_execz .LBB7_10
; %bb.7:
	s_mul_u64 s[10:11], s[18:19], s[10:11]
	s_mul_u64 s[26:27], s[20:21], s[6:7]
	s_lshl_b64 s[10:11], s[10:11], 2
	v_dual_mov_b32 v5, 0 :: v_dual_lshlrev_b32 v4, 2, v0
	s_lshl_b64 s[26:27], s[26:27], 2
	s_wait_kmcnt 0x0
	s_add_nc_u64 s[10:11], s[14:15], s[10:11]
	s_mul_u64 s[4:5], s[20:21], s[4:5]
	s_add_nc_u64 s[10:11], s[10:11], s[26:27]
	s_mul_u64 s[16:17], s[18:19], s[16:17]
	s_wait_alu 0xfffe
	s_sub_nc_u64 s[4:5], s[8:9], s[4:5]
	v_add_co_u32 v2, s0, s10, v4
	s_lshl_b64 s[8:9], s[16:17], 2
	s_wait_alu 0xfffe
	s_mul_u64 s[4:5], s[4:5], s[6:7]
	v_add_co_ci_u32_e64 v3, null, s11, 0, s0
	v_mov_b32_e32 v1, v5
	s_lshl_b64 s[14:15], s[6:7], 2
	s_add_nc_u64 s[6:7], s[22:23], s[8:9]
	s_wait_alu 0xfffe
	s_lshl_b64 s[4:5], s[4:5], 2
	s_and_b32 s0, s1, 0xffff
	s_add_nc_u64 s[14:15], s[10:11], s[14:15]
	s_mov_b32 s25, 0
	s_wait_alu 0xfffe
	s_add_nc_u64 s[4:5], s[6:7], s[4:5]
	s_lshl_b32 s6, s0, 2
	s_lshl_b32 s7, s0, 2
.LBB7_8:                                ; =>This Inner Loop Header: Depth=1
	v_add_co_u32 v6, vcc_lo, s10, v4
	s_wait_alu 0xfffd
	v_add_co_ci_u32_e64 v7, null, s11, v5, vcc_lo
	s_wait_alu 0xfffe
	v_add_co_u32 v8, vcc_lo, s4, v4
	s_wait_alu 0xfffd
	v_add_co_ci_u32_e64 v9, null, s5, v5, vcc_lo
	global_load_b32 v6, v[6:7], off
	global_load_b32 v7, v[8:9], off
	v_add_co_u32 v2, vcc_lo, v2, s7
	s_wait_alu 0xfffd
	v_add_co_ci_u32_e64 v3, null, 0, v3, vcc_lo
	v_add_co_u32 v4, s0, v4, s6
	s_wait_alu 0xf1ff
	v_add_co_ci_u32_e64 v5, null, 0, v5, s0
	s_delay_alu instid0(VALU_DEP_3) | instskip(SKIP_3) | instid1(VALU_DEP_1)
	v_cmp_le_u64_e32 vcc_lo, s[14:15], v[2:3]
	s_or_b32 s25, vcc_lo, s25
	s_wait_loadcnt 0x0
	v_sub_f32_e32 v6, v6, v7
	v_add_f32_e64 v1, v1, |v6|
	s_and_not1_b32 exec_lo, exec_lo, s25
	s_cbranch_execnz .LBB7_8
; %bb.9:
	s_or_b32 exec_lo, exec_lo, s25
.LBB7_10:
	s_delay_alu instid0(SALU_CYCLE_1) | instskip(SKIP_4) | instid1(VALU_DEP_1)
	s_or_b32 exec_lo, exec_lo, s24
	v_mbcnt_lo_u32_b32 v5, -1, 0
	s_mov_b32 s0, exec_lo
	s_barrier_signal -1
	s_barrier_wait -1
	v_lshl_or_b32 v2, v5, 2, 64
	v_cmp_gt_u32_e32 vcc_lo, 24, v5
	global_inv scope:SCOPE_SE
	ds_bpermute_b32 v4, v2, v1
	s_wait_alu 0xfffd
	v_cndmask_b32_e64 v3, 0, 8, vcc_lo
	v_cmp_gt_u32_e32 vcc_lo, 28, v5
	s_delay_alu instid0(VALU_DEP_2)
	v_add_lshl_u32 v3, v3, v5, 2
	s_wait_dscnt 0x0
	v_add_f32_e32 v4, v1, v4
	s_wait_alu 0xfffd
	v_cndmask_b32_e64 v1, 0, 4, vcc_lo
	v_cmp_gt_u32_e32 vcc_lo, 30, v5
	ds_bpermute_b32 v6, v3, v4
	v_add_lshl_u32 v1, v1, v5, 2
	s_wait_dscnt 0x0
	v_add_f32_e32 v6, v4, v6
	s_wait_alu 0xfffd
	v_cndmask_b32_e64 v4, 0, 2, vcc_lo
	v_cmp_ne_u32_e32 vcc_lo, 31, v5
	ds_bpermute_b32 v7, v1, v6
	v_add_lshl_u32 v4, v4, v5, 2
	s_wait_alu 0xfffd
	v_add_co_ci_u32_e64 v5, null, 0, v5, vcc_lo
	s_wait_dscnt 0x0
	s_delay_alu instid0(VALU_DEP_1)
	v_dual_add_f32 v6, v6, v7 :: v_dual_lshlrev_b32 v5, 2, v5
	ds_bpermute_b32 v7, v4, v6
	s_wait_dscnt 0x0
	v_dual_add_f32 v6, v6, v7 :: v_dual_and_b32 v7, 31, v0
	ds_bpermute_b32 v8, v5, v6
	v_cmpx_eq_u32_e32 0, v7
	s_cbranch_execz .LBB7_12
; %bb.11:
	s_wait_dscnt 0x0
	v_add_f32_e32 v6, v6, v8
	v_lshrrev_b32_e32 v8, 3, v0
	ds_store_b32 v8, v6
.LBB7_12:
	s_wait_alu 0xfffe
	s_or_b32 exec_lo, exec_lo, s0
	s_wait_kmcnt 0x0
	s_and_b32 s0, 0xffff, s1
	v_mov_b32_e32 v6, 0
	s_wait_alu 0xfffe
	s_lshr_b32 s0, s0, 5
	s_wait_loadcnt_dscnt 0x0
	s_wait_alu 0xfffe
	v_cmp_gt_u32_e32 vcc_lo, s0, v0
	s_barrier_signal -1
	s_barrier_wait -1
	global_inv scope:SCOPE_SE
	s_and_saveexec_b32 s0, vcc_lo
; %bb.13:
	v_lshlrev_b32_e32 v6, 2, v7
	ds_load_b32 v6, v6
; %bb.14:
	s_wait_alu 0xfffe
	s_or_b32 exec_lo, exec_lo, s0
	s_delay_alu instid0(SALU_CYCLE_1)
	s_mov_b32 s0, exec_lo
	v_cmpx_gt_u32_e32 32, v0
	s_cbranch_execz .LBB7_16
; %bb.15:
	s_wait_dscnt 0x0
	ds_bpermute_b32 v2, v2, v6
	s_wait_dscnt 0x0
	v_add_f32_e32 v2, v6, v2
	ds_bpermute_b32 v3, v3, v2
	s_wait_dscnt 0x0
	v_add_f32_e32 v2, v2, v3
	;; [unrolled: 3-line block ×5, first 2 shown]
.LBB7_16:
	s_wait_alu 0xfffe
	s_or_b32 exec_lo, exec_lo, s0
	s_delay_alu instid0(SALU_CYCLE_1)
	s_mov_b32 s0, exec_lo
	v_cmpx_eq_u32_e32 0, v0
	s_cbranch_execz .LBB7_18
; %bb.17:
	v_mov_b32_e32 v0, 0
	s_lshl_b64 s[0:1], s[2:3], 2
	s_wait_alu 0xfffe
	s_add_nc_u64 s[0:1], s[12:13], s[0:1]
	s_wait_dscnt 0x0
	global_store_b32 v0, v6, s[0:1]
.LBB7_18:
	s_endpgm
.LBB7_19:
                                        ; implicit-def: $sgpr18_sgpr19
	s_branch .LBB7_2
.LBB7_20:
                                        ; implicit-def: $sgpr20_sgpr21
	s_branch .LBB7_5
	.section	.rodata,"a",@progbits
	.p2align	6, 0x0
	.amdhsa_kernel _ZN2at6native12_GLOBAL__N_122cdist_kernel_cuda_implIfNS1_5distsIfE3oneEEEvPT_PKS6_S9_S6_lllll
		.amdhsa_group_segment_fixed_size 1024
		.amdhsa_private_segment_fixed_size 0
		.amdhsa_kernarg_size 328
		.amdhsa_user_sgpr_count 2
		.amdhsa_user_sgpr_dispatch_ptr 0
		.amdhsa_user_sgpr_queue_ptr 0
		.amdhsa_user_sgpr_kernarg_segment_ptr 1
		.amdhsa_user_sgpr_dispatch_id 0
		.amdhsa_user_sgpr_private_segment_size 0
		.amdhsa_wavefront_size32 1
		.amdhsa_uses_dynamic_stack 0
		.amdhsa_enable_private_segment 0
		.amdhsa_system_sgpr_workgroup_id_x 1
		.amdhsa_system_sgpr_workgroup_id_y 0
		.amdhsa_system_sgpr_workgroup_id_z 0
		.amdhsa_system_sgpr_workgroup_info 0
		.amdhsa_system_vgpr_workitem_id 0
		.amdhsa_next_free_vgpr 10
		.amdhsa_next_free_sgpr 36
		.amdhsa_reserve_vcc 1
		.amdhsa_float_round_mode_32 0
		.amdhsa_float_round_mode_16_64 0
		.amdhsa_float_denorm_mode_32 3
		.amdhsa_float_denorm_mode_16_64 3
		.amdhsa_fp16_overflow 0
		.amdhsa_workgroup_processor_mode 1
		.amdhsa_memory_ordered 1
		.amdhsa_forward_progress 1
		.amdhsa_inst_pref_size 18
		.amdhsa_round_robin_scheduling 0
		.amdhsa_exception_fp_ieee_invalid_op 0
		.amdhsa_exception_fp_denorm_src 0
		.amdhsa_exception_fp_ieee_div_zero 0
		.amdhsa_exception_fp_ieee_overflow 0
		.amdhsa_exception_fp_ieee_underflow 0
		.amdhsa_exception_fp_ieee_inexact 0
		.amdhsa_exception_int_div_zero 0
	.end_amdhsa_kernel
	.section	.text._ZN2at6native12_GLOBAL__N_122cdist_kernel_cuda_implIfNS1_5distsIfE3oneEEEvPT_PKS6_S9_S6_lllll,"axG",@progbits,_ZN2at6native12_GLOBAL__N_122cdist_kernel_cuda_implIfNS1_5distsIfE3oneEEEvPT_PKS6_S9_S6_lllll,comdat
.Lfunc_end7:
	.size	_ZN2at6native12_GLOBAL__N_122cdist_kernel_cuda_implIfNS1_5distsIfE3oneEEEvPT_PKS6_S9_S6_lllll, .Lfunc_end7-_ZN2at6native12_GLOBAL__N_122cdist_kernel_cuda_implIfNS1_5distsIfE3oneEEEvPT_PKS6_S9_S6_lllll
                                        ; -- End function
	.set _ZN2at6native12_GLOBAL__N_122cdist_kernel_cuda_implIfNS1_5distsIfE3oneEEEvPT_PKS6_S9_S6_lllll.num_vgpr, 10
	.set _ZN2at6native12_GLOBAL__N_122cdist_kernel_cuda_implIfNS1_5distsIfE3oneEEEvPT_PKS6_S9_S6_lllll.num_agpr, 0
	.set _ZN2at6native12_GLOBAL__N_122cdist_kernel_cuda_implIfNS1_5distsIfE3oneEEEvPT_PKS6_S9_S6_lllll.numbered_sgpr, 36
	.set _ZN2at6native12_GLOBAL__N_122cdist_kernel_cuda_implIfNS1_5distsIfE3oneEEEvPT_PKS6_S9_S6_lllll.num_named_barrier, 0
	.set _ZN2at6native12_GLOBAL__N_122cdist_kernel_cuda_implIfNS1_5distsIfE3oneEEEvPT_PKS6_S9_S6_lllll.private_seg_size, 0
	.set _ZN2at6native12_GLOBAL__N_122cdist_kernel_cuda_implIfNS1_5distsIfE3oneEEEvPT_PKS6_S9_S6_lllll.uses_vcc, 1
	.set _ZN2at6native12_GLOBAL__N_122cdist_kernel_cuda_implIfNS1_5distsIfE3oneEEEvPT_PKS6_S9_S6_lllll.uses_flat_scratch, 0
	.set _ZN2at6native12_GLOBAL__N_122cdist_kernel_cuda_implIfNS1_5distsIfE3oneEEEvPT_PKS6_S9_S6_lllll.has_dyn_sized_stack, 0
	.set _ZN2at6native12_GLOBAL__N_122cdist_kernel_cuda_implIfNS1_5distsIfE3oneEEEvPT_PKS6_S9_S6_lllll.has_recursion, 0
	.set _ZN2at6native12_GLOBAL__N_122cdist_kernel_cuda_implIfNS1_5distsIfE3oneEEEvPT_PKS6_S9_S6_lllll.has_indirect_call, 0
	.section	.AMDGPU.csdata,"",@progbits
; Kernel info:
; codeLenInByte = 2260
; TotalNumSgprs: 38
; NumVgprs: 10
; ScratchSize: 0
; MemoryBound: 0
; FloatMode: 240
; IeeeMode: 1
; LDSByteSize: 1024 bytes/workgroup (compile time only)
; SGPRBlocks: 0
; VGPRBlocks: 1
; NumSGPRsForWavesPerEU: 38
; NumVGPRsForWavesPerEU: 10
; Occupancy: 16
; WaveLimiterHint : 0
; COMPUTE_PGM_RSRC2:SCRATCH_EN: 0
; COMPUTE_PGM_RSRC2:USER_SGPR: 2
; COMPUTE_PGM_RSRC2:TRAP_HANDLER: 0
; COMPUTE_PGM_RSRC2:TGID_X_EN: 1
; COMPUTE_PGM_RSRC2:TGID_Y_EN: 0
; COMPUTE_PGM_RSRC2:TGID_Z_EN: 0
; COMPUTE_PGM_RSRC2:TIDIG_COMP_CNT: 0
	.section	.text._ZN2at6native12_GLOBAL__N_122cdist_kernel_cuda_implIfNS1_5distsIfE3twoEEEvPT_PKS6_S9_S6_lllll,"axG",@progbits,_ZN2at6native12_GLOBAL__N_122cdist_kernel_cuda_implIfNS1_5distsIfE3twoEEEvPT_PKS6_S9_S6_lllll,comdat
	.globl	_ZN2at6native12_GLOBAL__N_122cdist_kernel_cuda_implIfNS1_5distsIfE3twoEEEvPT_PKS6_S9_S6_lllll ; -- Begin function _ZN2at6native12_GLOBAL__N_122cdist_kernel_cuda_implIfNS1_5distsIfE3twoEEEvPT_PKS6_S9_S6_lllll
	.p2align	8
	.type	_ZN2at6native12_GLOBAL__N_122cdist_kernel_cuda_implIfNS1_5distsIfE3twoEEEvPT_PKS6_S9_S6_lllll,@function
_ZN2at6native12_GLOBAL__N_122cdist_kernel_cuda_implIfNS1_5distsIfE3twoEEEvPT_PKS6_S9_S6_lllll: ; @_ZN2at6native12_GLOBAL__N_122cdist_kernel_cuda_implIfNS1_5distsIfE3twoEEEvPT_PKS6_S9_S6_lllll
; %bb.0:
	s_clause 0x1
	s_load_b256 s[4:11], s[0:1], 0x20
	s_load_b64 s[16:17], s[0:1], 0x40
	s_mov_b32 s3, 0
	s_mov_b32 s2, ttmp9
	s_mov_b32 s12, s3
	s_wait_kmcnt 0x0
	s_mov_b32 s13, s9
	s_delay_alu instid0(SALU_CYCLE_1)
	s_cmp_lg_u64 s[12:13], 0
	s_cbranch_scc0 .LBB8_19
; %bb.1:
	s_ashr_i32 s12, s9, 31
	s_mov_b32 s23, s3
	s_mov_b32 s13, s12
	s_mov_b32 s27, s3
	s_add_nc_u64 s[14:15], s[8:9], s[12:13]
	s_delay_alu instid0(SALU_CYCLE_1) | instskip(NEXT) | instid1(SALU_CYCLE_1)
	s_xor_b64 s[14:15], s[14:15], s[12:13]
	s_cvt_f32_u32 s18, s14
	s_cvt_f32_u32 s19, s15
	s_sub_nc_u64 s[20:21], 0, s[14:15]
	s_delay_alu instid0(SALU_CYCLE_2) | instskip(NEXT) | instid1(SALU_CYCLE_3)
	s_fmamk_f32 s18, s19, 0x4f800000, s18
	v_s_rcp_f32 s18, s18
	s_delay_alu instid0(TRANS32_DEP_1) | instskip(SKIP_1) | instid1(SALU_CYCLE_2)
	s_mul_f32 s18, s18, 0x5f7ffffc
	s_wait_alu 0xfffe
	s_mul_f32 s19, s18, 0x2f800000
	s_wait_alu 0xfffe
	s_delay_alu instid0(SALU_CYCLE_2) | instskip(SKIP_1) | instid1(SALU_CYCLE_2)
	s_trunc_f32 s19, s19
	s_wait_alu 0xfffe
	s_fmamk_f32 s18, s19, 0xcf800000, s18
	s_cvt_u32_f32 s19, s19
	s_wait_alu 0xfffe
	s_delay_alu instid0(SALU_CYCLE_1) | instskip(SKIP_1) | instid1(SALU_CYCLE_2)
	s_cvt_u32_f32 s18, s18
	s_wait_alu 0xfffe
	s_mul_u64 s[24:25], s[20:21], s[18:19]
	s_delay_alu instid0(SALU_CYCLE_1)
	s_mul_hi_u32 s29, s18, s25
	s_mul_i32 s28, s18, s25
	s_mul_hi_u32 s22, s18, s24
	s_mul_i32 s30, s19, s24
	s_add_nc_u64 s[22:23], s[22:23], s[28:29]
	s_mul_hi_u32 s26, s19, s24
	s_mul_hi_u32 s31, s19, s25
	s_add_co_u32 s22, s22, s30
	s_add_co_ci_u32 s26, s23, s26
	s_mul_i32 s24, s19, s25
	s_add_co_ci_u32 s25, s31, 0
	s_delay_alu instid0(SALU_CYCLE_1) | instskip(SKIP_3) | instid1(SALU_CYCLE_1)
	s_add_nc_u64 s[22:23], s[26:27], s[24:25]
	s_mov_b32 s25, s3
	s_add_co_u32 s18, s18, s22
	s_cselect_b32 s22, -1, 0
	s_cmp_lg_u32 s22, 0
	s_add_co_ci_u32 s19, s19, s23
	s_mov_b32 s23, s3
	s_wait_alu 0xfffe
	s_mul_u64 s[20:21], s[20:21], s[18:19]
	s_delay_alu instid0(SALU_CYCLE_1)
	s_mul_hi_u32 s27, s18, s21
	s_mul_i32 s26, s18, s21
	s_mul_hi_u32 s22, s18, s20
	s_mul_i32 s28, s19, s20
	s_add_nc_u64 s[22:23], s[22:23], s[26:27]
	s_mul_hi_u32 s24, s19, s20
	s_mul_hi_u32 s29, s19, s21
	s_mul_i32 s20, s19, s21
	s_add_co_u32 s21, s22, s28
	s_add_co_ci_u32 s24, s23, s24
	s_add_co_ci_u32 s21, s29, 0
	s_add_nc_u64 s[22:23], s[2:3], 0
	s_add_nc_u64 s[20:21], s[24:25], s[20:21]
	s_delay_alu instid0(SALU_CYCLE_1)
	s_add_co_u32 s20, s18, s20
	s_cselect_b32 s18, -1, 0
	s_wait_alu 0xfffe
	s_cmp_lg_u32 s18, 0
	s_add_co_ci_u32 s26, s19, s21
	s_xor_b64 s[18:19], s[22:23], 0
	s_mov_b32 s21, s3
	s_wait_alu 0xfffe
	s_mul_hi_u32 s23, s18, s26
	s_mul_i32 s22, s18, s26
	s_mul_hi_u32 s24, s18, s20
	s_mul_hi_u32 s28, s19, s20
	s_mul_i32 s20, s19, s20
	s_add_nc_u64 s[22:23], s[24:25], s[22:23]
	s_mul_hi_u32 s27, s19, s26
	s_add_co_u32 s20, s22, s20
	s_add_co_ci_u32 s20, s23, s28
	s_mul_i32 s24, s19, s26
	s_add_co_ci_u32 s25, s27, 0
	s_delay_alu instid0(SALU_CYCLE_1) | instskip(NEXT) | instid1(SALU_CYCLE_1)
	s_add_nc_u64 s[20:21], s[20:21], s[24:25]
	s_mul_u64 s[22:23], s[14:15], s[20:21]
	s_delay_alu instid0(SALU_CYCLE_1)
	s_sub_co_u32 s18, s18, s22
	s_cselect_b32 s22, -1, 0
	s_sub_co_i32 s24, s19, s23
	s_cmp_lg_u32 s22, 0
	s_sub_co_ci_u32 s24, s24, s15
	s_wait_alu 0xfffe
	s_sub_co_u32 s25, s18, s14
	s_cselect_b32 s26, -1, 0
	s_delay_alu instid0(SALU_CYCLE_1) | instskip(SKIP_1) | instid1(SALU_CYCLE_1)
	s_cmp_lg_u32 s26, 0
	s_sub_co_ci_u32 s24, s24, 0
	s_cmp_ge_u32 s24, s15
	s_cselect_b32 s26, -1, 0
	s_cmp_ge_u32 s25, s14
	s_cselect_b32 s27, -1, 0
	s_cmp_eq_u32 s24, s15
	s_add_nc_u64 s[24:25], s[20:21], 1
	s_cselect_b32 s28, s27, s26
	s_add_nc_u64 s[26:27], s[20:21], 2
	s_cmp_lg_u32 s28, 0
	s_cselect_b32 s24, s26, s24
	s_cselect_b32 s25, s27, s25
	s_cmp_lg_u32 s22, 0
	s_sub_co_ci_u32 s19, s19, s23
	s_wait_alu 0xfffe
	s_cmp_ge_u32 s19, s15
	s_cselect_b32 s22, -1, 0
	s_cmp_ge_u32 s18, s14
	s_cselect_b32 s14, -1, 0
	s_cmp_eq_u32 s19, s15
	s_cselect_b32 s14, s14, s22
	s_delay_alu instid0(SALU_CYCLE_1) | instskip(SKIP_3) | instid1(SALU_CYCLE_1)
	s_cmp_lg_u32 s14, 0
	s_cselect_b32 s15, s25, s21
	s_cselect_b32 s14, s24, s20
	s_xor_b64 s[12:13], 0, s[12:13]
	s_xor_b64 s[14:15], s[14:15], s[12:13]
	s_delay_alu instid0(SALU_CYCLE_1) | instskip(SKIP_1) | instid1(SALU_CYCLE_1)
	s_sub_nc_u64 s[18:19], s[14:15], s[12:13]
	s_mov_b32 s12, s3
	s_and_not1_b32 vcc_lo, exec_lo, s12
	s_cbranch_vccnz .LBB8_3
.LBB8_2:
	v_cvt_f32_u32_e32 v1, s8
	s_sub_co_i32 s13, 0, s8
	s_mov_b32 s19, 0
	s_delay_alu instid0(VALU_DEP_1) | instskip(NEXT) | instid1(TRANS32_DEP_1)
	v_rcp_iflag_f32_e32 v1, v1
	v_mul_f32_e32 v1, 0x4f7ffffe, v1
	s_delay_alu instid0(VALU_DEP_1) | instskip(NEXT) | instid1(VALU_DEP_1)
	v_cvt_u32_f32_e32 v1, v1
	v_readfirstlane_b32 s12, v1
	s_mul_i32 s13, s13, s12
	s_delay_alu instid0(SALU_CYCLE_1) | instskip(NEXT) | instid1(SALU_CYCLE_1)
	s_mul_hi_u32 s13, s12, s13
	s_add_co_i32 s12, s12, s13
	s_delay_alu instid0(SALU_CYCLE_1) | instskip(NEXT) | instid1(SALU_CYCLE_1)
	s_mul_hi_u32 s12, s2, s12
	s_mul_i32 s13, s12, s8
	s_add_co_i32 s14, s12, 1
	s_sub_co_i32 s13, s2, s13
	s_delay_alu instid0(SALU_CYCLE_1)
	s_sub_co_i32 s15, s13, s8
	s_cmp_ge_u32 s13, s8
	s_cselect_b32 s12, s14, s12
	s_cselect_b32 s13, s15, s13
	s_add_co_i32 s14, s12, 1
	s_cmp_ge_u32 s13, s8
	s_cselect_b32 s18, s14, s12
.LBB8_3:
	s_wait_alu 0xfffe
	s_mul_u64 s[8:9], s[18:19], s[8:9]
	s_wait_alu 0xfffe
	s_sub_nc_u64 s[8:9], s[2:3], s[8:9]
	s_wait_alu 0xfffe
	s_or_b64 s[12:13], s[8:9], s[4:5]
	s_mov_b32 s12, 0
	s_delay_alu instid0(SALU_CYCLE_1)
	s_cmp_lg_u64 s[12:13], 0
	s_cbranch_scc0 .LBB8_20
; %bb.4:
	s_ashr_i32 s14, s5, 31
	s_mov_b32 s27, s12
	s_mov_b32 s15, s14
	;; [unrolled: 1-line block ×3, first 2 shown]
	s_add_nc_u64 s[20:21], s[4:5], s[14:15]
	s_delay_alu instid0(SALU_CYCLE_1) | instskip(NEXT) | instid1(SALU_CYCLE_1)
	s_xor_b64 s[20:21], s[20:21], s[14:15]
	s_cvt_f32_u32 s13, s20
	s_cvt_f32_u32 s22, s21
	s_sub_nc_u64 s[24:25], 0, s[20:21]
	s_delay_alu instid0(SALU_CYCLE_2) | instskip(NEXT) | instid1(SALU_CYCLE_3)
	s_fmamk_f32 s13, s22, 0x4f800000, s13
	v_s_rcp_f32 s13, s13
	s_delay_alu instid0(TRANS32_DEP_1) | instskip(SKIP_1) | instid1(SALU_CYCLE_2)
	s_mul_f32 s13, s13, 0x5f7ffffc
	s_wait_alu 0xfffe
	s_mul_f32 s22, s13, 0x2f800000
	s_delay_alu instid0(SALU_CYCLE_3) | instskip(NEXT) | instid1(SALU_CYCLE_3)
	s_trunc_f32 s22, s22
	s_fmamk_f32 s13, s22, 0xcf800000, s13
	s_cvt_u32_f32 s23, s22
	s_wait_alu 0xfffe
	s_delay_alu instid0(SALU_CYCLE_1) | instskip(NEXT) | instid1(SALU_CYCLE_3)
	s_cvt_u32_f32 s22, s13
	s_mul_u64 s[28:29], s[24:25], s[22:23]
	s_delay_alu instid0(SALU_CYCLE_1)
	s_mul_hi_u32 s35, s22, s29
	s_mul_i32 s34, s22, s29
	s_mul_hi_u32 s26, s22, s28
	s_mul_i32 s30, s23, s28
	s_add_nc_u64 s[26:27], s[26:27], s[34:35]
	s_mul_hi_u32 s13, s23, s28
	s_mul_hi_u32 s33, s23, s29
	s_add_co_u32 s26, s26, s30
	s_wait_alu 0xfffe
	s_add_co_ci_u32 s30, s27, s13
	s_mul_i32 s28, s23, s29
	s_add_co_ci_u32 s29, s33, 0
	s_delay_alu instid0(SALU_CYCLE_1)
	s_add_nc_u64 s[26:27], s[30:31], s[28:29]
	s_mov_b32 s29, s12
	s_add_co_u32 s22, s22, s26
	s_cselect_b32 s13, -1, 0
	s_wait_alu 0xfffe
	s_cmp_lg_u32 s13, 0
	s_add_co_ci_u32 s23, s23, s27
	s_mov_b32 s27, s12
	s_mul_u64 s[24:25], s[24:25], s[22:23]
	s_delay_alu instid0(SALU_CYCLE_1)
	s_mul_hi_u32 s31, s22, s25
	s_mul_i32 s30, s22, s25
	s_mul_hi_u32 s26, s22, s24
	s_mul_i32 s28, s23, s24
	s_add_nc_u64 s[26:27], s[26:27], s[30:31]
	s_mul_hi_u32 s13, s23, s24
	s_mul_hi_u32 s33, s23, s25
	s_mul_i32 s24, s23, s25
	s_add_co_u32 s25, s26, s28
	s_wait_alu 0xfffe
	s_add_co_ci_u32 s28, s27, s13
	s_add_co_ci_u32 s25, s33, 0
	s_mov_b32 s27, s12
	s_add_nc_u64 s[24:25], s[28:29], s[24:25]
	s_delay_alu instid0(SALU_CYCLE_1) | instskip(SKIP_1) | instid1(SALU_CYCLE_1)
	s_add_co_u32 s13, s22, s24
	s_cselect_b32 s22, -1, 0
	s_cmp_lg_u32 s22, 0
	s_add_co_ci_u32 s28, s23, s25
	s_ashr_i32 s22, s9, 31
	s_delay_alu instid0(SALU_CYCLE_1) | instskip(NEXT) | instid1(SALU_CYCLE_1)
	s_mov_b32 s23, s22
	s_add_nc_u64 s[24:25], s[8:9], s[22:23]
	s_delay_alu instid0(SALU_CYCLE_1) | instskip(NEXT) | instid1(SALU_CYCLE_1)
	s_xor_b64 s[24:25], s[24:25], s[22:23]
	s_mul_hi_u32 s31, s24, s28
	s_mul_i32 s30, s24, s28
	s_wait_alu 0xfffe
	s_mul_hi_u32 s26, s24, s13
	s_mul_hi_u32 s34, s25, s13
	s_mul_i32 s13, s25, s13
	s_add_nc_u64 s[26:27], s[26:27], s[30:31]
	s_mul_hi_u32 s33, s25, s28
	s_wait_alu 0xfffe
	s_add_co_u32 s13, s26, s13
	s_mul_i32 s30, s25, s28
	s_add_co_ci_u32 s28, s27, s34
	s_add_co_ci_u32 s31, s33, 0
	s_delay_alu instid0(SALU_CYCLE_1) | instskip(NEXT) | instid1(SALU_CYCLE_1)
	s_add_nc_u64 s[26:27], s[28:29], s[30:31]
	s_mul_u64 s[28:29], s[20:21], s[26:27]
	s_delay_alu instid0(SALU_CYCLE_1)
	s_sub_co_u32 s13, s24, s28
	s_cselect_b32 s24, -1, 0
	s_sub_co_i32 s28, s25, s29
	s_cmp_lg_u32 s24, 0
	s_sub_co_ci_u32 s28, s28, s21
	s_wait_alu 0xfffe
	s_sub_co_u32 s30, s13, s20
	s_cselect_b32 s31, -1, 0
	s_delay_alu instid0(SALU_CYCLE_1) | instskip(SKIP_1) | instid1(SALU_CYCLE_1)
	s_cmp_lg_u32 s31, 0
	s_sub_co_ci_u32 s28, s28, 0
	s_cmp_ge_u32 s28, s21
	s_cselect_b32 s33, -1, 0
	s_cmp_ge_u32 s30, s20
	s_add_nc_u64 s[30:31], s[26:27], 1
	s_cselect_b32 s34, -1, 0
	s_cmp_eq_u32 s28, s21
	s_cselect_b32 s28, s34, s33
	s_add_nc_u64 s[34:35], s[26:27], 2
	s_cmp_lg_u32 s28, 0
	s_cselect_b32 s28, s34, s30
	s_cselect_b32 s30, s35, s31
	s_cmp_lg_u32 s24, 0
	s_sub_co_ci_u32 s24, s25, s29
	s_delay_alu instid0(SALU_CYCLE_1)
	s_cmp_ge_u32 s24, s21
	s_cselect_b32 s25, -1, 0
	s_cmp_ge_u32 s13, s20
	s_cselect_b32 s13, -1, 0
	s_cmp_eq_u32 s24, s21
	s_wait_alu 0xfffe
	s_cselect_b32 s13, s13, s25
	s_wait_alu 0xfffe
	s_cmp_lg_u32 s13, 0
	s_cselect_b32 s21, s30, s27
	s_cselect_b32 s20, s28, s26
	s_xor_b64 s[14:15], s[22:23], s[14:15]
	s_delay_alu instid0(SALU_CYCLE_1) | instskip(NEXT) | instid1(SALU_CYCLE_1)
	s_xor_b64 s[20:21], s[20:21], s[14:15]
	s_sub_nc_u64 s[20:21], s[20:21], s[14:15]
	s_and_not1_b32 vcc_lo, exec_lo, s12
	s_cbranch_vccnz .LBB8_6
.LBB8_5:
	v_cvt_f32_u32_e32 v1, s4
	s_sub_co_i32 s13, 0, s4
	s_mov_b32 s21, 0
	s_delay_alu instid0(VALU_DEP_1) | instskip(NEXT) | instid1(TRANS32_DEP_1)
	v_rcp_iflag_f32_e32 v1, v1
	v_mul_f32_e32 v1, 0x4f7ffffe, v1
	s_delay_alu instid0(VALU_DEP_1) | instskip(NEXT) | instid1(VALU_DEP_1)
	v_cvt_u32_f32_e32 v1, v1
	v_readfirstlane_b32 s12, v1
	s_wait_alu 0xfffe
	s_mul_i32 s13, s13, s12
	s_wait_alu 0xfffe
	s_mul_hi_u32 s13, s12, s13
	s_wait_alu 0xfffe
	s_add_co_i32 s12, s12, s13
	s_wait_alu 0xfffe
	s_mul_hi_u32 s12, s8, s12
	s_wait_alu 0xfffe
	s_mul_i32 s13, s12, s4
	s_add_co_i32 s14, s12, 1
	s_wait_alu 0xfffe
	s_sub_co_i32 s13, s8, s13
	s_wait_alu 0xfffe
	s_sub_co_i32 s15, s13, s4
	s_cmp_ge_u32 s13, s4
	s_cselect_b32 s12, s14, s12
	s_cselect_b32 s13, s15, s13
	s_wait_alu 0xfffe
	s_add_co_i32 s14, s12, 1
	s_cmp_ge_u32 s13, s4
	s_cselect_b32 s20, s14, s12
.LBB8_6:
	s_clause 0x2
	s_load_b128 s[12:15], s[0:1], 0x0
	s_load_b64 s[22:23], s[0:1], 0x10
	s_load_b32 s1, s[0:1], 0x54
	v_mov_b32_e32 v1, 0
	s_mov_b32 s24, exec_lo
	s_delay_alu instid0(VALU_DEP_1)
	v_cmpx_gt_i64_e64 s[6:7], v[0:1]
	s_cbranch_execz .LBB8_10
; %bb.7:
	s_mul_u64 s[10:11], s[18:19], s[10:11]
	s_mul_u64 s[26:27], s[20:21], s[6:7]
	s_lshl_b64 s[10:11], s[10:11], 2
	v_dual_mov_b32 v5, 0 :: v_dual_lshlrev_b32 v4, 2, v0
	s_lshl_b64 s[26:27], s[26:27], 2
	s_wait_kmcnt 0x0
	s_add_nc_u64 s[10:11], s[14:15], s[10:11]
	s_mul_u64 s[4:5], s[20:21], s[4:5]
	s_add_nc_u64 s[10:11], s[10:11], s[26:27]
	s_mul_u64 s[16:17], s[18:19], s[16:17]
	s_wait_alu 0xfffe
	s_sub_nc_u64 s[4:5], s[8:9], s[4:5]
	v_add_co_u32 v2, s0, s10, v4
	s_lshl_b64 s[8:9], s[16:17], 2
	s_wait_alu 0xfffe
	s_mul_u64 s[4:5], s[4:5], s[6:7]
	v_add_co_ci_u32_e64 v3, null, s11, 0, s0
	v_mov_b32_e32 v1, v5
	s_lshl_b64 s[14:15], s[6:7], 2
	s_add_nc_u64 s[6:7], s[22:23], s[8:9]
	s_wait_alu 0xfffe
	s_lshl_b64 s[4:5], s[4:5], 2
	s_and_b32 s0, s1, 0xffff
	s_add_nc_u64 s[14:15], s[10:11], s[14:15]
	s_mov_b32 s25, 0
	s_wait_alu 0xfffe
	s_add_nc_u64 s[4:5], s[6:7], s[4:5]
	s_lshl_b32 s6, s0, 2
	s_lshl_b32 s7, s0, 2
.LBB8_8:                                ; =>This Inner Loop Header: Depth=1
	v_add_co_u32 v6, vcc_lo, s10, v4
	s_wait_alu 0xfffd
	v_add_co_ci_u32_e64 v7, null, s11, v5, vcc_lo
	s_wait_alu 0xfffe
	v_add_co_u32 v8, vcc_lo, s4, v4
	s_wait_alu 0xfffd
	v_add_co_ci_u32_e64 v9, null, s5, v5, vcc_lo
	global_load_b32 v6, v[6:7], off
	global_load_b32 v7, v[8:9], off
	v_add_co_u32 v2, vcc_lo, v2, s7
	s_wait_alu 0xfffd
	v_add_co_ci_u32_e64 v3, null, 0, v3, vcc_lo
	v_add_co_u32 v4, s0, v4, s6
	s_wait_alu 0xf1ff
	v_add_co_ci_u32_e64 v5, null, 0, v5, s0
	s_delay_alu instid0(VALU_DEP_3) | instskip(SKIP_3) | instid1(VALU_DEP_1)
	v_cmp_le_u64_e32 vcc_lo, s[14:15], v[2:3]
	s_or_b32 s25, vcc_lo, s25
	s_wait_loadcnt 0x0
	v_sub_f32_e32 v6, v6, v7
	v_fmac_f32_e32 v1, v6, v6
	s_and_not1_b32 exec_lo, exec_lo, s25
	s_cbranch_execnz .LBB8_8
; %bb.9:
	s_or_b32 exec_lo, exec_lo, s25
.LBB8_10:
	s_delay_alu instid0(SALU_CYCLE_1) | instskip(SKIP_4) | instid1(VALU_DEP_1)
	s_or_b32 exec_lo, exec_lo, s24
	v_mbcnt_lo_u32_b32 v5, -1, 0
	s_mov_b32 s0, exec_lo
	s_barrier_signal -1
	s_barrier_wait -1
	v_lshl_or_b32 v2, v5, 2, 64
	v_cmp_gt_u32_e32 vcc_lo, 24, v5
	global_inv scope:SCOPE_SE
	ds_bpermute_b32 v4, v2, v1
	s_wait_alu 0xfffd
	v_cndmask_b32_e64 v3, 0, 8, vcc_lo
	v_cmp_gt_u32_e32 vcc_lo, 28, v5
	s_delay_alu instid0(VALU_DEP_2)
	v_add_lshl_u32 v3, v3, v5, 2
	s_wait_dscnt 0x0
	v_add_f32_e32 v4, v1, v4
	s_wait_alu 0xfffd
	v_cndmask_b32_e64 v1, 0, 4, vcc_lo
	v_cmp_gt_u32_e32 vcc_lo, 30, v5
	ds_bpermute_b32 v6, v3, v4
	v_add_lshl_u32 v1, v1, v5, 2
	s_wait_dscnt 0x0
	v_add_f32_e32 v6, v4, v6
	s_wait_alu 0xfffd
	v_cndmask_b32_e64 v4, 0, 2, vcc_lo
	v_cmp_ne_u32_e32 vcc_lo, 31, v5
	ds_bpermute_b32 v7, v1, v6
	v_add_lshl_u32 v4, v4, v5, 2
	s_wait_alu 0xfffd
	v_add_co_ci_u32_e64 v5, null, 0, v5, vcc_lo
	s_wait_dscnt 0x0
	s_delay_alu instid0(VALU_DEP_1)
	v_dual_add_f32 v6, v6, v7 :: v_dual_lshlrev_b32 v5, 2, v5
	ds_bpermute_b32 v7, v4, v6
	s_wait_dscnt 0x0
	v_dual_add_f32 v6, v6, v7 :: v_dual_and_b32 v7, 31, v0
	ds_bpermute_b32 v8, v5, v6
	v_cmpx_eq_u32_e32 0, v7
	s_cbranch_execz .LBB8_12
; %bb.11:
	s_wait_dscnt 0x0
	v_add_f32_e32 v6, v6, v8
	v_lshrrev_b32_e32 v8, 3, v0
	ds_store_b32 v8, v6
.LBB8_12:
	s_wait_alu 0xfffe
	s_or_b32 exec_lo, exec_lo, s0
	s_wait_kmcnt 0x0
	s_and_b32 s0, 0xffff, s1
	v_mov_b32_e32 v6, 0
	s_wait_alu 0xfffe
	s_lshr_b32 s0, s0, 5
	s_wait_loadcnt_dscnt 0x0
	s_wait_alu 0xfffe
	v_cmp_gt_u32_e32 vcc_lo, s0, v0
	s_barrier_signal -1
	s_barrier_wait -1
	global_inv scope:SCOPE_SE
	s_and_saveexec_b32 s0, vcc_lo
; %bb.13:
	v_lshlrev_b32_e32 v6, 2, v7
	ds_load_b32 v6, v6
; %bb.14:
	s_wait_alu 0xfffe
	s_or_b32 exec_lo, exec_lo, s0
	s_delay_alu instid0(SALU_CYCLE_1)
	s_mov_b32 s0, exec_lo
	v_cmpx_gt_u32_e32 32, v0
	s_cbranch_execz .LBB8_16
; %bb.15:
	s_wait_dscnt 0x0
	ds_bpermute_b32 v2, v2, v6
	s_wait_dscnt 0x0
	v_add_f32_e32 v2, v6, v2
	ds_bpermute_b32 v3, v3, v2
	s_wait_dscnt 0x0
	v_add_f32_e32 v2, v2, v3
	;; [unrolled: 3-line block ×5, first 2 shown]
.LBB8_16:
	s_wait_alu 0xfffe
	s_or_b32 exec_lo, exec_lo, s0
	s_delay_alu instid0(SALU_CYCLE_1)
	s_mov_b32 s0, exec_lo
	v_cmpx_eq_u32_e32 0, v0
	s_cbranch_execz .LBB8_18
; %bb.17:
	s_wait_dscnt 0x0
	v_mul_f32_e32 v0, 0x4f800000, v6
	v_cmp_gt_f32_e32 vcc_lo, 0xf800000, v6
	s_wait_alu 0xfffd
	s_delay_alu instid0(VALU_DEP_2) | instskip(NEXT) | instid1(VALU_DEP_1)
	v_cndmask_b32_e32 v0, v6, v0, vcc_lo
	v_sqrt_f32_e32 v1, v0
	s_delay_alu instid0(TRANS32_DEP_1) | instskip(SKIP_1) | instid1(VALU_DEP_2)
	v_add_nc_u32_e32 v2, -1, v1
	v_add_nc_u32_e32 v3, 1, v1
	v_fma_f32 v4, -v2, v1, v0
	s_delay_alu instid0(VALU_DEP_2) | instskip(NEXT) | instid1(VALU_DEP_2)
	v_fma_f32 v5, -v3, v1, v0
	v_cmp_ge_f32_e64 s0, 0, v4
	s_wait_alu 0xf1fe
	s_delay_alu instid0(VALU_DEP_1) | instskip(NEXT) | instid1(VALU_DEP_3)
	v_cndmask_b32_e64 v1, v1, v2, s0
	v_cmp_lt_f32_e64 s0, 0, v5
	s_wait_alu 0xf1ff
	s_delay_alu instid0(VALU_DEP_1) | instskip(SKIP_3) | instid1(VALU_DEP_1)
	v_cndmask_b32_e64 v1, v1, v3, s0
	s_lshl_b64 s[0:1], s[2:3], 2
	s_wait_alu 0xfffe
	s_add_nc_u64 s[0:1], s[12:13], s[0:1]
	v_mul_f32_e32 v2, 0x37800000, v1
	s_delay_alu instid0(VALU_DEP_1) | instskip(SKIP_3) | instid1(VALU_DEP_3)
	v_cndmask_b32_e32 v1, v1, v2, vcc_lo
	v_cmp_class_f32_e64 vcc_lo, v0, 0x260
	v_mov_b32_e32 v2, 0
	s_wait_alu 0xfffd
	v_cndmask_b32_e32 v0, v1, v0, vcc_lo
	global_store_b32 v2, v0, s[0:1]
.LBB8_18:
	s_endpgm
.LBB8_19:
                                        ; implicit-def: $sgpr18_sgpr19
	s_branch .LBB8_2
.LBB8_20:
                                        ; implicit-def: $sgpr20_sgpr21
	s_branch .LBB8_5
	.section	.rodata,"a",@progbits
	.p2align	6, 0x0
	.amdhsa_kernel _ZN2at6native12_GLOBAL__N_122cdist_kernel_cuda_implIfNS1_5distsIfE3twoEEEvPT_PKS6_S9_S6_lllll
		.amdhsa_group_segment_fixed_size 1024
		.amdhsa_private_segment_fixed_size 0
		.amdhsa_kernarg_size 328
		.amdhsa_user_sgpr_count 2
		.amdhsa_user_sgpr_dispatch_ptr 0
		.amdhsa_user_sgpr_queue_ptr 0
		.amdhsa_user_sgpr_kernarg_segment_ptr 1
		.amdhsa_user_sgpr_dispatch_id 0
		.amdhsa_user_sgpr_private_segment_size 0
		.amdhsa_wavefront_size32 1
		.amdhsa_uses_dynamic_stack 0
		.amdhsa_enable_private_segment 0
		.amdhsa_system_sgpr_workgroup_id_x 1
		.amdhsa_system_sgpr_workgroup_id_y 0
		.amdhsa_system_sgpr_workgroup_id_z 0
		.amdhsa_system_sgpr_workgroup_info 0
		.amdhsa_system_vgpr_workitem_id 0
		.amdhsa_next_free_vgpr 10
		.amdhsa_next_free_sgpr 36
		.amdhsa_reserve_vcc 1
		.amdhsa_float_round_mode_32 0
		.amdhsa_float_round_mode_16_64 0
		.amdhsa_float_denorm_mode_32 3
		.amdhsa_float_denorm_mode_16_64 3
		.amdhsa_fp16_overflow 0
		.amdhsa_workgroup_processor_mode 1
		.amdhsa_memory_ordered 1
		.amdhsa_forward_progress 1
		.amdhsa_inst_pref_size 19
		.amdhsa_round_robin_scheduling 0
		.amdhsa_exception_fp_ieee_invalid_op 0
		.amdhsa_exception_fp_denorm_src 0
		.amdhsa_exception_fp_ieee_div_zero 0
		.amdhsa_exception_fp_ieee_overflow 0
		.amdhsa_exception_fp_ieee_underflow 0
		.amdhsa_exception_fp_ieee_inexact 0
		.amdhsa_exception_int_div_zero 0
	.end_amdhsa_kernel
	.section	.text._ZN2at6native12_GLOBAL__N_122cdist_kernel_cuda_implIfNS1_5distsIfE3twoEEEvPT_PKS6_S9_S6_lllll,"axG",@progbits,_ZN2at6native12_GLOBAL__N_122cdist_kernel_cuda_implIfNS1_5distsIfE3twoEEEvPT_PKS6_S9_S6_lllll,comdat
.Lfunc_end8:
	.size	_ZN2at6native12_GLOBAL__N_122cdist_kernel_cuda_implIfNS1_5distsIfE3twoEEEvPT_PKS6_S9_S6_lllll, .Lfunc_end8-_ZN2at6native12_GLOBAL__N_122cdist_kernel_cuda_implIfNS1_5distsIfE3twoEEEvPT_PKS6_S9_S6_lllll
                                        ; -- End function
	.set _ZN2at6native12_GLOBAL__N_122cdist_kernel_cuda_implIfNS1_5distsIfE3twoEEEvPT_PKS6_S9_S6_lllll.num_vgpr, 10
	.set _ZN2at6native12_GLOBAL__N_122cdist_kernel_cuda_implIfNS1_5distsIfE3twoEEEvPT_PKS6_S9_S6_lllll.num_agpr, 0
	.set _ZN2at6native12_GLOBAL__N_122cdist_kernel_cuda_implIfNS1_5distsIfE3twoEEEvPT_PKS6_S9_S6_lllll.numbered_sgpr, 36
	.set _ZN2at6native12_GLOBAL__N_122cdist_kernel_cuda_implIfNS1_5distsIfE3twoEEEvPT_PKS6_S9_S6_lllll.num_named_barrier, 0
	.set _ZN2at6native12_GLOBAL__N_122cdist_kernel_cuda_implIfNS1_5distsIfE3twoEEEvPT_PKS6_S9_S6_lllll.private_seg_size, 0
	.set _ZN2at6native12_GLOBAL__N_122cdist_kernel_cuda_implIfNS1_5distsIfE3twoEEEvPT_PKS6_S9_S6_lllll.uses_vcc, 1
	.set _ZN2at6native12_GLOBAL__N_122cdist_kernel_cuda_implIfNS1_5distsIfE3twoEEEvPT_PKS6_S9_S6_lllll.uses_flat_scratch, 0
	.set _ZN2at6native12_GLOBAL__N_122cdist_kernel_cuda_implIfNS1_5distsIfE3twoEEEvPT_PKS6_S9_S6_lllll.has_dyn_sized_stack, 0
	.set _ZN2at6native12_GLOBAL__N_122cdist_kernel_cuda_implIfNS1_5distsIfE3twoEEEvPT_PKS6_S9_S6_lllll.has_recursion, 0
	.set _ZN2at6native12_GLOBAL__N_122cdist_kernel_cuda_implIfNS1_5distsIfE3twoEEEvPT_PKS6_S9_S6_lllll.has_indirect_call, 0
	.section	.AMDGPU.csdata,"",@progbits
; Kernel info:
; codeLenInByte = 2404
; TotalNumSgprs: 38
; NumVgprs: 10
; ScratchSize: 0
; MemoryBound: 0
; FloatMode: 240
; IeeeMode: 1
; LDSByteSize: 1024 bytes/workgroup (compile time only)
; SGPRBlocks: 0
; VGPRBlocks: 1
; NumSGPRsForWavesPerEU: 38
; NumVGPRsForWavesPerEU: 10
; Occupancy: 16
; WaveLimiterHint : 0
; COMPUTE_PGM_RSRC2:SCRATCH_EN: 0
; COMPUTE_PGM_RSRC2:USER_SGPR: 2
; COMPUTE_PGM_RSRC2:TRAP_HANDLER: 0
; COMPUTE_PGM_RSRC2:TGID_X_EN: 1
; COMPUTE_PGM_RSRC2:TGID_Y_EN: 0
; COMPUTE_PGM_RSRC2:TGID_Z_EN: 0
; COMPUTE_PGM_RSRC2:TIDIG_COMP_CNT: 0
	.section	.text._ZN2at6native12_GLOBAL__N_122cdist_kernel_cuda_implIfNS1_5distsIfE3infEEEvPT_PKS6_S9_S6_lllll,"axG",@progbits,_ZN2at6native12_GLOBAL__N_122cdist_kernel_cuda_implIfNS1_5distsIfE3infEEEvPT_PKS6_S9_S6_lllll,comdat
	.globl	_ZN2at6native12_GLOBAL__N_122cdist_kernel_cuda_implIfNS1_5distsIfE3infEEEvPT_PKS6_S9_S6_lllll ; -- Begin function _ZN2at6native12_GLOBAL__N_122cdist_kernel_cuda_implIfNS1_5distsIfE3infEEEvPT_PKS6_S9_S6_lllll
	.p2align	8
	.type	_ZN2at6native12_GLOBAL__N_122cdist_kernel_cuda_implIfNS1_5distsIfE3infEEEvPT_PKS6_S9_S6_lllll,@function
_ZN2at6native12_GLOBAL__N_122cdist_kernel_cuda_implIfNS1_5distsIfE3infEEEvPT_PKS6_S9_S6_lllll: ; @_ZN2at6native12_GLOBAL__N_122cdist_kernel_cuda_implIfNS1_5distsIfE3infEEEvPT_PKS6_S9_S6_lllll
; %bb.0:
	s_clause 0x1
	s_load_b256 s[4:11], s[0:1], 0x20
	s_load_b64 s[16:17], s[0:1], 0x40
	s_mov_b32 s3, 0
	s_mov_b32 s2, ttmp9
	s_mov_b32 s12, s3
	s_wait_kmcnt 0x0
	s_mov_b32 s13, s9
	s_delay_alu instid0(SALU_CYCLE_1)
	s_cmp_lg_u64 s[12:13], 0
	s_cbranch_scc0 .LBB9_19
; %bb.1:
	s_ashr_i32 s12, s9, 31
	s_mov_b32 s23, s3
	s_mov_b32 s13, s12
	;; [unrolled: 1-line block ×3, first 2 shown]
	s_add_nc_u64 s[14:15], s[8:9], s[12:13]
	s_delay_alu instid0(SALU_CYCLE_1) | instskip(NEXT) | instid1(SALU_CYCLE_1)
	s_xor_b64 s[14:15], s[14:15], s[12:13]
	s_cvt_f32_u32 s18, s14
	s_cvt_f32_u32 s19, s15
	s_sub_nc_u64 s[20:21], 0, s[14:15]
	s_delay_alu instid0(SALU_CYCLE_2) | instskip(NEXT) | instid1(SALU_CYCLE_3)
	s_fmamk_f32 s18, s19, 0x4f800000, s18
	v_s_rcp_f32 s18, s18
	s_delay_alu instid0(TRANS32_DEP_1) | instskip(SKIP_1) | instid1(SALU_CYCLE_2)
	s_mul_f32 s18, s18, 0x5f7ffffc
	s_wait_alu 0xfffe
	s_mul_f32 s19, s18, 0x2f800000
	s_wait_alu 0xfffe
	s_delay_alu instid0(SALU_CYCLE_2) | instskip(SKIP_1) | instid1(SALU_CYCLE_2)
	s_trunc_f32 s19, s19
	s_wait_alu 0xfffe
	s_fmamk_f32 s18, s19, 0xcf800000, s18
	s_cvt_u32_f32 s19, s19
	s_wait_alu 0xfffe
	s_delay_alu instid0(SALU_CYCLE_1) | instskip(SKIP_1) | instid1(SALU_CYCLE_2)
	s_cvt_u32_f32 s18, s18
	s_wait_alu 0xfffe
	s_mul_u64 s[24:25], s[20:21], s[18:19]
	s_delay_alu instid0(SALU_CYCLE_1)
	s_mul_hi_u32 s29, s18, s25
	s_mul_i32 s28, s18, s25
	s_mul_hi_u32 s22, s18, s24
	s_mul_i32 s30, s19, s24
	s_add_nc_u64 s[22:23], s[22:23], s[28:29]
	s_mul_hi_u32 s26, s19, s24
	s_mul_hi_u32 s31, s19, s25
	s_add_co_u32 s22, s22, s30
	s_add_co_ci_u32 s26, s23, s26
	s_mul_i32 s24, s19, s25
	s_add_co_ci_u32 s25, s31, 0
	s_delay_alu instid0(SALU_CYCLE_1) | instskip(SKIP_3) | instid1(SALU_CYCLE_1)
	s_add_nc_u64 s[22:23], s[26:27], s[24:25]
	s_mov_b32 s25, s3
	s_add_co_u32 s18, s18, s22
	s_cselect_b32 s22, -1, 0
	s_cmp_lg_u32 s22, 0
	s_add_co_ci_u32 s19, s19, s23
	s_mov_b32 s23, s3
	s_wait_alu 0xfffe
	s_mul_u64 s[20:21], s[20:21], s[18:19]
	s_delay_alu instid0(SALU_CYCLE_1)
	s_mul_hi_u32 s27, s18, s21
	s_mul_i32 s26, s18, s21
	s_mul_hi_u32 s22, s18, s20
	s_mul_i32 s28, s19, s20
	s_add_nc_u64 s[22:23], s[22:23], s[26:27]
	s_mul_hi_u32 s24, s19, s20
	s_mul_hi_u32 s29, s19, s21
	s_mul_i32 s20, s19, s21
	s_add_co_u32 s21, s22, s28
	s_add_co_ci_u32 s24, s23, s24
	s_add_co_ci_u32 s21, s29, 0
	s_add_nc_u64 s[22:23], s[2:3], 0
	s_add_nc_u64 s[20:21], s[24:25], s[20:21]
	s_delay_alu instid0(SALU_CYCLE_1)
	s_add_co_u32 s20, s18, s20
	s_cselect_b32 s18, -1, 0
	s_wait_alu 0xfffe
	s_cmp_lg_u32 s18, 0
	s_add_co_ci_u32 s26, s19, s21
	s_xor_b64 s[18:19], s[22:23], 0
	s_mov_b32 s21, s3
	s_wait_alu 0xfffe
	s_mul_hi_u32 s23, s18, s26
	s_mul_i32 s22, s18, s26
	s_mul_hi_u32 s24, s18, s20
	s_mul_hi_u32 s28, s19, s20
	s_mul_i32 s20, s19, s20
	s_add_nc_u64 s[22:23], s[24:25], s[22:23]
	s_mul_hi_u32 s27, s19, s26
	s_add_co_u32 s20, s22, s20
	s_add_co_ci_u32 s20, s23, s28
	s_mul_i32 s24, s19, s26
	s_add_co_ci_u32 s25, s27, 0
	s_delay_alu instid0(SALU_CYCLE_1) | instskip(NEXT) | instid1(SALU_CYCLE_1)
	s_add_nc_u64 s[20:21], s[20:21], s[24:25]
	s_mul_u64 s[22:23], s[14:15], s[20:21]
	s_delay_alu instid0(SALU_CYCLE_1)
	s_sub_co_u32 s18, s18, s22
	s_cselect_b32 s22, -1, 0
	s_sub_co_i32 s24, s19, s23
	s_cmp_lg_u32 s22, 0
	s_sub_co_ci_u32 s24, s24, s15
	s_wait_alu 0xfffe
	s_sub_co_u32 s25, s18, s14
	s_cselect_b32 s26, -1, 0
	s_delay_alu instid0(SALU_CYCLE_1) | instskip(SKIP_1) | instid1(SALU_CYCLE_1)
	s_cmp_lg_u32 s26, 0
	s_sub_co_ci_u32 s24, s24, 0
	s_cmp_ge_u32 s24, s15
	s_cselect_b32 s26, -1, 0
	s_cmp_ge_u32 s25, s14
	s_cselect_b32 s27, -1, 0
	s_cmp_eq_u32 s24, s15
	s_add_nc_u64 s[24:25], s[20:21], 1
	s_cselect_b32 s28, s27, s26
	s_add_nc_u64 s[26:27], s[20:21], 2
	s_cmp_lg_u32 s28, 0
	s_cselect_b32 s24, s26, s24
	s_cselect_b32 s25, s27, s25
	s_cmp_lg_u32 s22, 0
	s_sub_co_ci_u32 s19, s19, s23
	s_wait_alu 0xfffe
	s_cmp_ge_u32 s19, s15
	s_cselect_b32 s22, -1, 0
	s_cmp_ge_u32 s18, s14
	s_cselect_b32 s14, -1, 0
	s_cmp_eq_u32 s19, s15
	s_cselect_b32 s14, s14, s22
	s_delay_alu instid0(SALU_CYCLE_1) | instskip(SKIP_3) | instid1(SALU_CYCLE_1)
	s_cmp_lg_u32 s14, 0
	s_cselect_b32 s15, s25, s21
	s_cselect_b32 s14, s24, s20
	s_xor_b64 s[12:13], 0, s[12:13]
	s_xor_b64 s[14:15], s[14:15], s[12:13]
	s_delay_alu instid0(SALU_CYCLE_1) | instskip(SKIP_1) | instid1(SALU_CYCLE_1)
	s_sub_nc_u64 s[18:19], s[14:15], s[12:13]
	s_mov_b32 s12, s3
	s_and_not1_b32 vcc_lo, exec_lo, s12
	s_cbranch_vccnz .LBB9_3
.LBB9_2:
	v_cvt_f32_u32_e32 v1, s8
	s_sub_co_i32 s13, 0, s8
	s_mov_b32 s19, 0
	s_delay_alu instid0(VALU_DEP_1) | instskip(NEXT) | instid1(TRANS32_DEP_1)
	v_rcp_iflag_f32_e32 v1, v1
	v_mul_f32_e32 v1, 0x4f7ffffe, v1
	s_delay_alu instid0(VALU_DEP_1) | instskip(NEXT) | instid1(VALU_DEP_1)
	v_cvt_u32_f32_e32 v1, v1
	v_readfirstlane_b32 s12, v1
	s_mul_i32 s13, s13, s12
	s_delay_alu instid0(SALU_CYCLE_1) | instskip(NEXT) | instid1(SALU_CYCLE_1)
	s_mul_hi_u32 s13, s12, s13
	s_add_co_i32 s12, s12, s13
	s_delay_alu instid0(SALU_CYCLE_1) | instskip(NEXT) | instid1(SALU_CYCLE_1)
	s_mul_hi_u32 s12, s2, s12
	s_mul_i32 s13, s12, s8
	s_add_co_i32 s14, s12, 1
	s_sub_co_i32 s13, s2, s13
	s_delay_alu instid0(SALU_CYCLE_1)
	s_sub_co_i32 s15, s13, s8
	s_cmp_ge_u32 s13, s8
	s_cselect_b32 s12, s14, s12
	s_cselect_b32 s13, s15, s13
	s_add_co_i32 s14, s12, 1
	s_cmp_ge_u32 s13, s8
	s_cselect_b32 s18, s14, s12
.LBB9_3:
	s_wait_alu 0xfffe
	s_mul_u64 s[8:9], s[18:19], s[8:9]
	s_wait_alu 0xfffe
	s_sub_nc_u64 s[8:9], s[2:3], s[8:9]
	s_wait_alu 0xfffe
	s_or_b64 s[12:13], s[8:9], s[4:5]
	s_mov_b32 s12, 0
	s_delay_alu instid0(SALU_CYCLE_1)
	s_cmp_lg_u64 s[12:13], 0
	s_cbranch_scc0 .LBB9_20
; %bb.4:
	s_ashr_i32 s14, s5, 31
	s_mov_b32 s27, s12
	s_mov_b32 s15, s14
	s_mov_b32 s31, s12
	s_add_nc_u64 s[20:21], s[4:5], s[14:15]
	s_delay_alu instid0(SALU_CYCLE_1) | instskip(NEXT) | instid1(SALU_CYCLE_1)
	s_xor_b64 s[20:21], s[20:21], s[14:15]
	s_cvt_f32_u32 s13, s20
	s_cvt_f32_u32 s22, s21
	s_sub_nc_u64 s[24:25], 0, s[20:21]
	s_delay_alu instid0(SALU_CYCLE_2) | instskip(NEXT) | instid1(SALU_CYCLE_3)
	s_fmamk_f32 s13, s22, 0x4f800000, s13
	v_s_rcp_f32 s13, s13
	s_delay_alu instid0(TRANS32_DEP_1) | instskip(SKIP_1) | instid1(SALU_CYCLE_2)
	s_mul_f32 s13, s13, 0x5f7ffffc
	s_wait_alu 0xfffe
	s_mul_f32 s22, s13, 0x2f800000
	s_delay_alu instid0(SALU_CYCLE_3) | instskip(NEXT) | instid1(SALU_CYCLE_3)
	s_trunc_f32 s22, s22
	s_fmamk_f32 s13, s22, 0xcf800000, s13
	s_cvt_u32_f32 s23, s22
	s_wait_alu 0xfffe
	s_delay_alu instid0(SALU_CYCLE_1) | instskip(NEXT) | instid1(SALU_CYCLE_3)
	s_cvt_u32_f32 s22, s13
	s_mul_u64 s[28:29], s[24:25], s[22:23]
	s_delay_alu instid0(SALU_CYCLE_1)
	s_mul_hi_u32 s35, s22, s29
	s_mul_i32 s34, s22, s29
	s_mul_hi_u32 s26, s22, s28
	s_mul_i32 s30, s23, s28
	s_add_nc_u64 s[26:27], s[26:27], s[34:35]
	s_mul_hi_u32 s13, s23, s28
	s_mul_hi_u32 s33, s23, s29
	s_add_co_u32 s26, s26, s30
	s_wait_alu 0xfffe
	s_add_co_ci_u32 s30, s27, s13
	s_mul_i32 s28, s23, s29
	s_add_co_ci_u32 s29, s33, 0
	s_delay_alu instid0(SALU_CYCLE_1)
	s_add_nc_u64 s[26:27], s[30:31], s[28:29]
	s_mov_b32 s29, s12
	s_add_co_u32 s22, s22, s26
	s_cselect_b32 s13, -1, 0
	s_wait_alu 0xfffe
	s_cmp_lg_u32 s13, 0
	s_add_co_ci_u32 s23, s23, s27
	s_mov_b32 s27, s12
	s_mul_u64 s[24:25], s[24:25], s[22:23]
	s_delay_alu instid0(SALU_CYCLE_1)
	s_mul_hi_u32 s31, s22, s25
	s_mul_i32 s30, s22, s25
	s_mul_hi_u32 s26, s22, s24
	s_mul_i32 s28, s23, s24
	s_add_nc_u64 s[26:27], s[26:27], s[30:31]
	s_mul_hi_u32 s13, s23, s24
	s_mul_hi_u32 s33, s23, s25
	s_mul_i32 s24, s23, s25
	s_add_co_u32 s25, s26, s28
	s_wait_alu 0xfffe
	s_add_co_ci_u32 s28, s27, s13
	s_add_co_ci_u32 s25, s33, 0
	s_mov_b32 s27, s12
	s_add_nc_u64 s[24:25], s[28:29], s[24:25]
	s_delay_alu instid0(SALU_CYCLE_1) | instskip(SKIP_1) | instid1(SALU_CYCLE_1)
	s_add_co_u32 s13, s22, s24
	s_cselect_b32 s22, -1, 0
	s_cmp_lg_u32 s22, 0
	s_add_co_ci_u32 s28, s23, s25
	s_ashr_i32 s22, s9, 31
	s_delay_alu instid0(SALU_CYCLE_1) | instskip(NEXT) | instid1(SALU_CYCLE_1)
	s_mov_b32 s23, s22
	s_add_nc_u64 s[24:25], s[8:9], s[22:23]
	s_delay_alu instid0(SALU_CYCLE_1) | instskip(NEXT) | instid1(SALU_CYCLE_1)
	s_xor_b64 s[24:25], s[24:25], s[22:23]
	s_mul_hi_u32 s31, s24, s28
	s_mul_i32 s30, s24, s28
	s_wait_alu 0xfffe
	s_mul_hi_u32 s26, s24, s13
	s_mul_hi_u32 s34, s25, s13
	s_mul_i32 s13, s25, s13
	s_add_nc_u64 s[26:27], s[26:27], s[30:31]
	s_mul_hi_u32 s33, s25, s28
	s_wait_alu 0xfffe
	s_add_co_u32 s13, s26, s13
	s_mul_i32 s30, s25, s28
	s_add_co_ci_u32 s28, s27, s34
	s_add_co_ci_u32 s31, s33, 0
	s_delay_alu instid0(SALU_CYCLE_1) | instskip(NEXT) | instid1(SALU_CYCLE_1)
	s_add_nc_u64 s[26:27], s[28:29], s[30:31]
	s_mul_u64 s[28:29], s[20:21], s[26:27]
	s_delay_alu instid0(SALU_CYCLE_1)
	s_sub_co_u32 s13, s24, s28
	s_cselect_b32 s24, -1, 0
	s_sub_co_i32 s28, s25, s29
	s_cmp_lg_u32 s24, 0
	s_sub_co_ci_u32 s28, s28, s21
	s_wait_alu 0xfffe
	s_sub_co_u32 s30, s13, s20
	s_cselect_b32 s31, -1, 0
	s_delay_alu instid0(SALU_CYCLE_1) | instskip(SKIP_1) | instid1(SALU_CYCLE_1)
	s_cmp_lg_u32 s31, 0
	s_sub_co_ci_u32 s28, s28, 0
	s_cmp_ge_u32 s28, s21
	s_cselect_b32 s33, -1, 0
	s_cmp_ge_u32 s30, s20
	s_add_nc_u64 s[30:31], s[26:27], 1
	s_cselect_b32 s34, -1, 0
	s_cmp_eq_u32 s28, s21
	s_cselect_b32 s28, s34, s33
	s_add_nc_u64 s[34:35], s[26:27], 2
	s_cmp_lg_u32 s28, 0
	s_cselect_b32 s28, s34, s30
	s_cselect_b32 s30, s35, s31
	s_cmp_lg_u32 s24, 0
	s_sub_co_ci_u32 s24, s25, s29
	s_delay_alu instid0(SALU_CYCLE_1)
	s_cmp_ge_u32 s24, s21
	s_cselect_b32 s25, -1, 0
	s_cmp_ge_u32 s13, s20
	s_cselect_b32 s13, -1, 0
	s_cmp_eq_u32 s24, s21
	s_wait_alu 0xfffe
	s_cselect_b32 s13, s13, s25
	s_wait_alu 0xfffe
	s_cmp_lg_u32 s13, 0
	s_cselect_b32 s21, s30, s27
	s_cselect_b32 s20, s28, s26
	s_xor_b64 s[14:15], s[22:23], s[14:15]
	s_delay_alu instid0(SALU_CYCLE_1) | instskip(NEXT) | instid1(SALU_CYCLE_1)
	s_xor_b64 s[20:21], s[20:21], s[14:15]
	s_sub_nc_u64 s[20:21], s[20:21], s[14:15]
	s_and_not1_b32 vcc_lo, exec_lo, s12
	s_cbranch_vccnz .LBB9_6
.LBB9_5:
	v_cvt_f32_u32_e32 v1, s4
	s_sub_co_i32 s13, 0, s4
	s_mov_b32 s21, 0
	s_delay_alu instid0(VALU_DEP_1) | instskip(NEXT) | instid1(TRANS32_DEP_1)
	v_rcp_iflag_f32_e32 v1, v1
	v_mul_f32_e32 v1, 0x4f7ffffe, v1
	s_delay_alu instid0(VALU_DEP_1) | instskip(NEXT) | instid1(VALU_DEP_1)
	v_cvt_u32_f32_e32 v1, v1
	v_readfirstlane_b32 s12, v1
	s_wait_alu 0xfffe
	s_mul_i32 s13, s13, s12
	s_wait_alu 0xfffe
	s_mul_hi_u32 s13, s12, s13
	s_wait_alu 0xfffe
	s_add_co_i32 s12, s12, s13
	s_wait_alu 0xfffe
	s_mul_hi_u32 s12, s8, s12
	s_wait_alu 0xfffe
	s_mul_i32 s13, s12, s4
	s_add_co_i32 s14, s12, 1
	s_wait_alu 0xfffe
	s_sub_co_i32 s13, s8, s13
	s_wait_alu 0xfffe
	s_sub_co_i32 s15, s13, s4
	s_cmp_ge_u32 s13, s4
	s_cselect_b32 s12, s14, s12
	s_cselect_b32 s13, s15, s13
	s_wait_alu 0xfffe
	s_add_co_i32 s14, s12, 1
	s_cmp_ge_u32 s13, s4
	s_cselect_b32 s20, s14, s12
.LBB9_6:
	s_clause 0x2
	s_load_b128 s[12:15], s[0:1], 0x0
	s_load_b64 s[22:23], s[0:1], 0x10
	s_load_b32 s1, s[0:1], 0x54
	v_mov_b32_e32 v1, 0
	s_mov_b32 s24, exec_lo
	s_delay_alu instid0(VALU_DEP_1)
	v_cmpx_gt_i64_e64 s[6:7], v[0:1]
	s_cbranch_execz .LBB9_10
; %bb.7:
	s_mul_u64 s[10:11], s[18:19], s[10:11]
	s_mul_u64 s[26:27], s[20:21], s[6:7]
	s_lshl_b64 s[10:11], s[10:11], 2
	v_dual_mov_b32 v5, 0 :: v_dual_lshlrev_b32 v4, 2, v0
	s_lshl_b64 s[26:27], s[26:27], 2
	s_wait_kmcnt 0x0
	s_add_nc_u64 s[10:11], s[14:15], s[10:11]
	s_mul_u64 s[4:5], s[20:21], s[4:5]
	s_add_nc_u64 s[10:11], s[10:11], s[26:27]
	s_mul_u64 s[16:17], s[18:19], s[16:17]
	s_wait_alu 0xfffe
	s_sub_nc_u64 s[4:5], s[8:9], s[4:5]
	v_add_co_u32 v2, s0, s10, v4
	s_lshl_b64 s[8:9], s[16:17], 2
	s_wait_alu 0xfffe
	s_mul_u64 s[4:5], s[4:5], s[6:7]
	v_add_co_ci_u32_e64 v3, null, s11, 0, s0
	v_mov_b32_e32 v1, v5
	s_lshl_b64 s[14:15], s[6:7], 2
	s_add_nc_u64 s[6:7], s[22:23], s[8:9]
	s_wait_alu 0xfffe
	s_lshl_b64 s[4:5], s[4:5], 2
	s_and_b32 s0, s1, 0xffff
	s_add_nc_u64 s[14:15], s[10:11], s[14:15]
	s_mov_b32 s25, 0
	s_wait_alu 0xfffe
	s_add_nc_u64 s[4:5], s[6:7], s[4:5]
	s_lshl_b32 s6, s0, 2
	s_lshl_b32 s7, s0, 2
.LBB9_8:                                ; =>This Inner Loop Header: Depth=1
	v_add_co_u32 v6, vcc_lo, s10, v4
	s_wait_alu 0xfffd
	v_add_co_ci_u32_e64 v7, null, s11, v5, vcc_lo
	s_wait_alu 0xfffe
	v_add_co_u32 v8, vcc_lo, s4, v4
	s_wait_alu 0xfffd
	v_add_co_ci_u32_e64 v9, null, s5, v5, vcc_lo
	global_load_b32 v6, v[6:7], off
	global_load_b32 v7, v[8:9], off
	v_add_co_u32 v2, vcc_lo, v2, s7
	s_wait_alu 0xfffd
	v_add_co_ci_u32_e64 v3, null, 0, v3, vcc_lo
	v_add_co_u32 v4, vcc_lo, v4, s6
	s_wait_alu 0xfffd
	v_add_co_ci_u32_e64 v5, null, 0, v5, vcc_lo
	s_delay_alu instid0(VALU_DEP_3) | instskip(SKIP_3) | instid1(VALU_DEP_1)
	v_cmp_le_u64_e64 s0, s[14:15], v[2:3]
	s_or_b32 s25, s0, s25
	s_wait_loadcnt 0x0
	v_sub_f32_e32 v6, v6, v7
	v_cmp_gt_f32_e64 s8, |v6|, v1
	s_wait_alu 0xf1ff
	s_delay_alu instid0(VALU_DEP_1)
	v_cndmask_b32_e64 v1, v1, |v6|, s8
	s_and_not1_b32 exec_lo, exec_lo, s25
	s_cbranch_execnz .LBB9_8
; %bb.9:
	s_or_b32 exec_lo, exec_lo, s25
.LBB9_10:
	s_delay_alu instid0(SALU_CYCLE_1) | instskip(SKIP_4) | instid1(VALU_DEP_1)
	s_or_b32 exec_lo, exec_lo, s24
	v_mbcnt_lo_u32_b32 v5, -1, 0
	s_mov_b32 s0, exec_lo
	s_barrier_signal -1
	s_barrier_wait -1
	v_lshl_or_b32 v2, v5, 2, 64
	v_cmp_gt_u32_e32 vcc_lo, 24, v5
	global_inv scope:SCOPE_SE
	ds_bpermute_b32 v4, v2, v1
	s_wait_alu 0xfffd
	v_cndmask_b32_e64 v3, 0, 8, vcc_lo
	s_delay_alu instid0(VALU_DEP_1)
	v_add_lshl_u32 v3, v3, v5, 2
	s_wait_dscnt 0x0
	v_cmp_lt_f32_e32 vcc_lo, v1, v4
	s_wait_alu 0xfffd
	v_cndmask_b32_e32 v4, v1, v4, vcc_lo
	v_cmp_gt_u32_e32 vcc_lo, 28, v5
	ds_bpermute_b32 v6, v3, v4
	s_wait_alu 0xfffd
	v_cndmask_b32_e64 v1, 0, 4, vcc_lo
	s_delay_alu instid0(VALU_DEP_1)
	v_add_lshl_u32 v1, v1, v5, 2
	s_wait_dscnt 0x0
	v_cmp_lt_f32_e32 vcc_lo, v4, v6
	s_wait_alu 0xfffd
	v_cndmask_b32_e32 v6, v4, v6, vcc_lo
	v_cmp_gt_u32_e32 vcc_lo, 30, v5
	ds_bpermute_b32 v7, v1, v6
	s_wait_alu 0xfffd
	v_cndmask_b32_e64 v4, 0, 2, vcc_lo
	s_delay_alu instid0(VALU_DEP_1)
	v_add_lshl_u32 v4, v4, v5, 2
	s_wait_dscnt 0x0
	v_cmp_lt_f32_e32 vcc_lo, v6, v7
	s_wait_alu 0xfffd
	v_cndmask_b32_e32 v6, v6, v7, vcc_lo
	v_cmp_ne_u32_e32 vcc_lo, 31, v5
	ds_bpermute_b32 v7, v4, v6
	s_wait_alu 0xfffd
	v_add_co_ci_u32_e64 v5, null, 0, v5, vcc_lo
	s_delay_alu instid0(VALU_DEP_1)
	v_lshlrev_b32_e32 v5, 2, v5
	s_wait_dscnt 0x0
	v_cmp_lt_f32_e32 vcc_lo, v6, v7
	s_wait_alu 0xfffd
	v_dual_cndmask_b32 v6, v6, v7 :: v_dual_and_b32 v7, 31, v0
	ds_bpermute_b32 v8, v5, v6
	v_cmpx_eq_u32_e32 0, v7
	s_cbranch_execz .LBB9_12
; %bb.11:
	s_wait_dscnt 0x0
	v_cmp_lt_f32_e32 vcc_lo, v6, v8
	s_wait_alu 0xfffd
	v_cndmask_b32_e32 v6, v6, v8, vcc_lo
	v_lshrrev_b32_e32 v8, 3, v0
	ds_store_b32 v8, v6
.LBB9_12:
	s_wait_alu 0xfffe
	s_or_b32 exec_lo, exec_lo, s0
	s_wait_kmcnt 0x0
	s_and_b32 s0, 0xffff, s1
	v_mov_b32_e32 v6, 0
	s_wait_alu 0xfffe
	s_lshr_b32 s0, s0, 5
	s_wait_loadcnt_dscnt 0x0
	s_wait_alu 0xfffe
	v_cmp_gt_u32_e32 vcc_lo, s0, v0
	s_barrier_signal -1
	s_barrier_wait -1
	global_inv scope:SCOPE_SE
	s_and_saveexec_b32 s0, vcc_lo
; %bb.13:
	v_lshlrev_b32_e32 v6, 2, v7
	ds_load_b32 v6, v6
; %bb.14:
	s_wait_alu 0xfffe
	s_or_b32 exec_lo, exec_lo, s0
	s_delay_alu instid0(SALU_CYCLE_1)
	s_mov_b32 s0, exec_lo
	v_cmpx_gt_u32_e32 32, v0
	s_cbranch_execz .LBB9_16
; %bb.15:
	s_wait_dscnt 0x0
	ds_bpermute_b32 v2, v2, v6
	s_wait_dscnt 0x0
	v_cmp_lt_f32_e32 vcc_lo, v6, v2
	s_wait_alu 0xfffd
	v_cndmask_b32_e32 v2, v6, v2, vcc_lo
	ds_bpermute_b32 v3, v3, v2
	s_wait_dscnt 0x0
	v_cmp_lt_f32_e32 vcc_lo, v2, v3
	s_wait_alu 0xfffd
	v_cndmask_b32_e32 v2, v2, v3, vcc_lo
	;; [unrolled: 5-line block ×5, first 2 shown]
.LBB9_16:
	s_wait_alu 0xfffe
	s_or_b32 exec_lo, exec_lo, s0
	s_delay_alu instid0(SALU_CYCLE_1)
	s_mov_b32 s0, exec_lo
	v_cmpx_eq_u32_e32 0, v0
	s_cbranch_execz .LBB9_18
; %bb.17:
	v_mov_b32_e32 v0, 0
	s_lshl_b64 s[0:1], s[2:3], 2
	s_wait_alu 0xfffe
	s_add_nc_u64 s[0:1], s[12:13], s[0:1]
	s_wait_dscnt 0x0
	global_store_b32 v0, v6, s[0:1]
.LBB9_18:
	s_endpgm
.LBB9_19:
                                        ; implicit-def: $sgpr18_sgpr19
	s_branch .LBB9_2
.LBB9_20:
                                        ; implicit-def: $sgpr20_sgpr21
	s_branch .LBB9_5
	.section	.rodata,"a",@progbits
	.p2align	6, 0x0
	.amdhsa_kernel _ZN2at6native12_GLOBAL__N_122cdist_kernel_cuda_implIfNS1_5distsIfE3infEEEvPT_PKS6_S9_S6_lllll
		.amdhsa_group_segment_fixed_size 1024
		.amdhsa_private_segment_fixed_size 0
		.amdhsa_kernarg_size 328
		.amdhsa_user_sgpr_count 2
		.amdhsa_user_sgpr_dispatch_ptr 0
		.amdhsa_user_sgpr_queue_ptr 0
		.amdhsa_user_sgpr_kernarg_segment_ptr 1
		.amdhsa_user_sgpr_dispatch_id 0
		.amdhsa_user_sgpr_private_segment_size 0
		.amdhsa_wavefront_size32 1
		.amdhsa_uses_dynamic_stack 0
		.amdhsa_enable_private_segment 0
		.amdhsa_system_sgpr_workgroup_id_x 1
		.amdhsa_system_sgpr_workgroup_id_y 0
		.amdhsa_system_sgpr_workgroup_id_z 0
		.amdhsa_system_sgpr_workgroup_info 0
		.amdhsa_system_vgpr_workitem_id 0
		.amdhsa_next_free_vgpr 10
		.amdhsa_next_free_sgpr 36
		.amdhsa_reserve_vcc 1
		.amdhsa_float_round_mode_32 0
		.amdhsa_float_round_mode_16_64 0
		.amdhsa_float_denorm_mode_32 3
		.amdhsa_float_denorm_mode_16_64 3
		.amdhsa_fp16_overflow 0
		.amdhsa_workgroup_processor_mode 1
		.amdhsa_memory_ordered 1
		.amdhsa_forward_progress 1
		.amdhsa_inst_pref_size 19
		.amdhsa_round_robin_scheduling 0
		.amdhsa_exception_fp_ieee_invalid_op 0
		.amdhsa_exception_fp_denorm_src 0
		.amdhsa_exception_fp_ieee_div_zero 0
		.amdhsa_exception_fp_ieee_overflow 0
		.amdhsa_exception_fp_ieee_underflow 0
		.amdhsa_exception_fp_ieee_inexact 0
		.amdhsa_exception_int_div_zero 0
	.end_amdhsa_kernel
	.section	.text._ZN2at6native12_GLOBAL__N_122cdist_kernel_cuda_implIfNS1_5distsIfE3infEEEvPT_PKS6_S9_S6_lllll,"axG",@progbits,_ZN2at6native12_GLOBAL__N_122cdist_kernel_cuda_implIfNS1_5distsIfE3infEEEvPT_PKS6_S9_S6_lllll,comdat
.Lfunc_end9:
	.size	_ZN2at6native12_GLOBAL__N_122cdist_kernel_cuda_implIfNS1_5distsIfE3infEEEvPT_PKS6_S9_S6_lllll, .Lfunc_end9-_ZN2at6native12_GLOBAL__N_122cdist_kernel_cuda_implIfNS1_5distsIfE3infEEEvPT_PKS6_S9_S6_lllll
                                        ; -- End function
	.set _ZN2at6native12_GLOBAL__N_122cdist_kernel_cuda_implIfNS1_5distsIfE3infEEEvPT_PKS6_S9_S6_lllll.num_vgpr, 10
	.set _ZN2at6native12_GLOBAL__N_122cdist_kernel_cuda_implIfNS1_5distsIfE3infEEEvPT_PKS6_S9_S6_lllll.num_agpr, 0
	.set _ZN2at6native12_GLOBAL__N_122cdist_kernel_cuda_implIfNS1_5distsIfE3infEEEvPT_PKS6_S9_S6_lllll.numbered_sgpr, 36
	.set _ZN2at6native12_GLOBAL__N_122cdist_kernel_cuda_implIfNS1_5distsIfE3infEEEvPT_PKS6_S9_S6_lllll.num_named_barrier, 0
	.set _ZN2at6native12_GLOBAL__N_122cdist_kernel_cuda_implIfNS1_5distsIfE3infEEEvPT_PKS6_S9_S6_lllll.private_seg_size, 0
	.set _ZN2at6native12_GLOBAL__N_122cdist_kernel_cuda_implIfNS1_5distsIfE3infEEEvPT_PKS6_S9_S6_lllll.uses_vcc, 1
	.set _ZN2at6native12_GLOBAL__N_122cdist_kernel_cuda_implIfNS1_5distsIfE3infEEEvPT_PKS6_S9_S6_lllll.uses_flat_scratch, 0
	.set _ZN2at6native12_GLOBAL__N_122cdist_kernel_cuda_implIfNS1_5distsIfE3infEEEvPT_PKS6_S9_S6_lllll.has_dyn_sized_stack, 0
	.set _ZN2at6native12_GLOBAL__N_122cdist_kernel_cuda_implIfNS1_5distsIfE3infEEEvPT_PKS6_S9_S6_lllll.has_recursion, 0
	.set _ZN2at6native12_GLOBAL__N_122cdist_kernel_cuda_implIfNS1_5distsIfE3infEEEvPT_PKS6_S9_S6_lllll.has_indirect_call, 0
	.section	.AMDGPU.csdata,"",@progbits
; Kernel info:
; codeLenInByte = 2368
; TotalNumSgprs: 38
; NumVgprs: 10
; ScratchSize: 0
; MemoryBound: 0
; FloatMode: 240
; IeeeMode: 1
; LDSByteSize: 1024 bytes/workgroup (compile time only)
; SGPRBlocks: 0
; VGPRBlocks: 1
; NumSGPRsForWavesPerEU: 38
; NumVGPRsForWavesPerEU: 10
; Occupancy: 16
; WaveLimiterHint : 0
; COMPUTE_PGM_RSRC2:SCRATCH_EN: 0
; COMPUTE_PGM_RSRC2:USER_SGPR: 2
; COMPUTE_PGM_RSRC2:TRAP_HANDLER: 0
; COMPUTE_PGM_RSRC2:TGID_X_EN: 1
; COMPUTE_PGM_RSRC2:TGID_Y_EN: 0
; COMPUTE_PGM_RSRC2:TGID_Z_EN: 0
; COMPUTE_PGM_RSRC2:TIDIG_COMP_CNT: 0
	.section	.text._ZN2at6native12_GLOBAL__N_122pdist_kernel_cuda_implIdNS1_5distsIdE1pEEEvPT_PKS6_llS6_dd,"axG",@progbits,_ZN2at6native12_GLOBAL__N_122pdist_kernel_cuda_implIdNS1_5distsIdE1pEEEvPT_PKS6_llS6_dd,comdat
	.globl	_ZN2at6native12_GLOBAL__N_122pdist_kernel_cuda_implIdNS1_5distsIdE1pEEEvPT_PKS6_llS6_dd ; -- Begin function _ZN2at6native12_GLOBAL__N_122pdist_kernel_cuda_implIdNS1_5distsIdE1pEEEvPT_PKS6_llS6_dd
	.p2align	8
	.type	_ZN2at6native12_GLOBAL__N_122pdist_kernel_cuda_implIdNS1_5distsIdE1pEEEvPT_PKS6_llS6_dd,@function
_ZN2at6native12_GLOBAL__N_122pdist_kernel_cuda_implIdNS1_5distsIdE1pEEEvPT_PKS6_llS6_dd: ; @_ZN2at6native12_GLOBAL__N_122pdist_kernel_cuda_implIdNS1_5distsIdE1pEEEvPT_PKS6_llS6_dd
; %bb.0:
	s_clause 0x2
	s_load_b256 s[4:11], s[0:1], 0x0
	s_load_b256 s[12:19], s[0:1], 0x20
	s_load_b32 s33, s[0:1], 0x44
	v_mov_b32_e32 v1, 0
	s_mov_b32 s20, ttmp9
	s_mov_b32 s21, 0
	s_wait_kmcnt 0x0
	s_delay_alu instid0(VALU_DEP_1)
	v_cmp_gt_i64_e32 vcc_lo, s[10:11], v[0:1]
	v_mov_b32_e32 v1, 0
	v_mov_b32_e32 v2, 0
	s_and_saveexec_b32 s70, vcc_lo
	s_cbranch_execz .LBB10_4
; %bb.1:
	s_lshl_b64 s[0:1], s[20:21], 1
	s_mov_b32 s18, 0x4222de17
	v_cvt_f64_u32_e32 v[1:2], s1
	v_cvt_f64_u32_e32 v[3:4], s0
	s_mov_b32 s1, s21
	s_mov_b32 s22, 0x3abe935a
	;; [unrolled: 1-line block ×36, first 2 shown]
	v_ldexp_f64 v[1:2], v[1:2], 32
	s_mov_b32 s49, 0xbc7abc9e
	s_mov_b32 s51, 0x3e928af3
	;; [unrolled: 1-line block ×12, first 2 shown]
	s_delay_alu instid0(VALU_DEP_1) | instskip(NEXT) | instid1(VALU_DEP_1)
	v_add_f64_e32 v[1:2], v[1:2], v[3:4]
	v_add_f64_e64 v[1:2], s[16:17], -v[1:2]
	s_mov_b32 s16, 0x968915a9
	s_mov_b32 s17, 0x3fba6564
	s_delay_alu instid0(VALU_DEP_1)
	v_cmp_gt_f64_e32 vcc_lo, 0x10000000, v[1:2]
	s_and_b32 s0, vcc_lo, exec_lo
	s_cselect_b32 s0, 0x100, 0
	s_wait_alu 0xfffe
	v_ldexp_f64 v[1:2], v[1:2], s0
	s_cselect_b32 s0, 0xffffff80, 0
	s_lshl_b64 s[76:77], s[10:11], 3
	s_delay_alu instid0(VALU_DEP_1) | instskip(SKIP_1) | instid1(TRANS32_DEP_1)
	v_rsq_f64_e32 v[3:4], v[1:2]
	v_cmp_class_f64_e64 vcc_lo, v[1:2], 0x260
	v_mul_f64_e32 v[5:6], v[1:2], v[3:4]
	v_mul_f64_e32 v[3:4], 0.5, v[3:4]
	s_delay_alu instid0(VALU_DEP_1) | instskip(NEXT) | instid1(VALU_DEP_1)
	v_fma_f64 v[7:8], -v[3:4], v[5:6], 0.5
	v_fma_f64 v[5:6], v[5:6], v[7:8], v[5:6]
	v_fma_f64 v[3:4], v[3:4], v[7:8], v[3:4]
	s_delay_alu instid0(VALU_DEP_2) | instskip(NEXT) | instid1(VALU_DEP_1)
	v_fma_f64 v[7:8], -v[5:6], v[5:6], v[1:2]
	v_fma_f64 v[5:6], v[7:8], v[3:4], v[5:6]
	s_delay_alu instid0(VALU_DEP_1) | instskip(NEXT) | instid1(VALU_DEP_1)
	v_fma_f64 v[7:8], -v[5:6], v[5:6], v[1:2]
	v_fma_f64 v[3:4], v[7:8], v[3:4], v[5:6]
	v_dual_mov_b32 v5, s13 :: v_dual_lshlrev_b32 v8, 3, v0
	s_wait_alu 0xfffe
	s_delay_alu instid0(VALU_DEP_2) | instskip(NEXT) | instid1(VALU_DEP_1)
	v_ldexp_f64 v[3:4], v[3:4], s0
	v_dual_cndmask_b32 v2, v4, v2 :: v_dual_cndmask_b32 v1, v3, v1
	s_delay_alu instid0(VALU_DEP_1) | instskip(SKIP_4) | instid1(VALU_DEP_1)
	v_add_f64_e64 v[1:2], s[14:15], -v[1:2]
	s_mov_b32 s14, 0x55555555
	s_mov_b32 s15, 0xbfe55555
	s_wait_alu 0xfffe
	s_mov_b32 s2, s14
	v_trunc_f64_e32 v[1:2], v[1:2]
	s_delay_alu instid0(VALU_DEP_1) | instskip(NEXT) | instid1(VALU_DEP_1)
	v_ldexp_f64 v[3:4], v[1:2], 0xffffffe0
	v_floor_f64_e32 v[3:4], v[3:4]
	s_delay_alu instid0(VALU_DEP_1) | instskip(SKIP_3) | instid1(VALU_DEP_4)
	v_fma_f64 v[6:7], 0xc1f00000, v[3:4], v[1:2]
	v_cvt_i32_f64_e32 v3, v[3:4]
	v_mov_b32_e32 v1, 0
	v_mov_b32_e32 v2, 0
	v_cvt_u32_f64_e32 v4, v[6:7]
	s_delay_alu instid0(VALU_DEP_4)
	v_readfirstlane_b32 s75, v3
	v_add_co_u32 v6, s0, s6, v8
	s_wait_alu 0xf1ff
	v_add_co_ci_u32_e64 v7, null, s7, 0, s0
	s_and_b32 s0, s33, 0xffff
	s_wait_alu 0xfffe
	s_lshl_b32 s71, s0, 3
	s_lshl_b32 s72, s0, 3
	v_readfirstlane_b32 s74, v4
	s_add_nc_u64 s[80:81], s[74:75], 1
	s_mul_u64 s[78:79], s[10:11], s[74:75]
	s_mul_u64 s[82:83], s[8:9], s[74:75]
	;; [unrolled: 1-line block ×3, first 2 shown]
	s_lshl_b64 s[8:9], s[78:79], 3
	s_lshr_b32 s0, s75, 31
	s_add_nc_u64 s[78:79], s[80:81], s[20:21]
	s_wait_alu 0xfffe
	s_add_nc_u64 s[0:1], s[74:75], s[0:1]
	s_add_nc_u64 s[6:7], s[6:7], s[8:9]
	s_sub_nc_u64 s[74:75], s[78:79], s[82:83]
	s_wait_alu 0xfffe
	s_lshr_b64 s[0:1], s[0:1], 1
	v_add_co_u32 v3, s46, s6, v8
	s_wait_alu 0xfffe
	s_add_nc_u64 s[0:1], s[74:75], s[0:1]
	v_add_co_ci_u32_e64 v4, null, s7, 0, s46
	s_wait_alu 0xfffe
	s_mul_u64 s[0:1], s[10:11], s[0:1]
	s_add_nc_u64 s[6:7], s[6:7], s[76:77]
	s_wait_alu 0xfffe
	s_lshl_b64 s[10:11], s[0:1], 3
.LBB10_2:                               ; =>This Inner Loop Header: Depth=1
	v_add_co_u32 v8, vcc_lo, v6, s8
	s_wait_alu 0xfffd
	v_add_co_ci_u32_e64 v9, null, s9, v7, vcc_lo
	s_wait_alu 0xfffe
	v_add_co_u32 v10, vcc_lo, v6, s10
	s_wait_alu 0xfffd
	v_add_co_ci_u32_e64 v11, null, s11, v7, vcc_lo
	s_clause 0x1
	global_load_b64 v[8:9], v[8:9], off
	global_load_b64 v[10:11], v[10:11], off
	s_mov_b32 s46, s38
	s_mov_b32 s48, s40
	s_wait_loadcnt 0x0
	v_add_f64_e64 v[8:9], v[8:9], -v[10:11]
	s_delay_alu instid0(VALU_DEP_1) | instskip(SKIP_2) | instid1(VALU_DEP_2)
	v_cmp_neq_f64_e64 vcc_lo, |v[8:9]|, 1.0
	s_wait_alu 0xfffd
	v_cndmask_b32_e32 v11, 0x3ff00000, v5, vcc_lo
	v_cndmask_b32_e64 v10, 0, s12, vcc_lo
	s_delay_alu instid0(VALU_DEP_1) | instskip(SKIP_3) | instid1(VALU_DEP_1)
	v_cmp_neq_f64_e32 vcc_lo, 0, v[10:11]
	s_wait_alu 0xfffd
	v_cndmask_b32_e32 v9, 0x3ff00000, v9, vcc_lo
	v_cndmask_b32_e32 v8, 0, v8, vcc_lo
	v_frexp_mant_f64_e64 v[12:13], |v[8:9]|
	s_delay_alu instid0(VALU_DEP_1) | instskip(SKIP_2) | instid1(VALU_DEP_1)
	v_cmp_gt_f64_e32 vcc_lo, s[2:3], v[12:13]
	s_wait_alu 0xfffd
	v_cndmask_b32_e64 v14, 0, 1, vcc_lo
	v_ldexp_f64 v[12:13], v[12:13], v14
	s_delay_alu instid0(VALU_DEP_1) | instskip(SKIP_1) | instid1(VALU_DEP_2)
	v_add_f64_e32 v[14:15], 1.0, v[12:13]
	v_add_f64_e32 v[20:21], -1.0, v[12:13]
	v_rcp_f64_e32 v[16:17], v[14:15]
	v_add_f64_e32 v[22:23], -1.0, v[14:15]
	s_delay_alu instid0(VALU_DEP_1) | instskip(NEXT) | instid1(TRANS32_DEP_1)
	v_add_f64_e64 v[12:13], v[12:13], -v[22:23]
	v_fma_f64 v[18:19], -v[14:15], v[16:17], 1.0
	s_delay_alu instid0(VALU_DEP_1) | instskip(NEXT) | instid1(VALU_DEP_1)
	v_fma_f64 v[16:17], v[18:19], v[16:17], v[16:17]
	v_fma_f64 v[18:19], -v[14:15], v[16:17], 1.0
	s_delay_alu instid0(VALU_DEP_1) | instskip(NEXT) | instid1(VALU_DEP_1)
	v_fma_f64 v[16:17], v[18:19], v[16:17], v[16:17]
	v_mul_f64_e32 v[18:19], v[20:21], v[16:17]
	s_delay_alu instid0(VALU_DEP_1) | instskip(NEXT) | instid1(VALU_DEP_1)
	v_mul_f64_e32 v[24:25], v[14:15], v[18:19]
	v_fma_f64 v[14:15], v[18:19], v[14:15], -v[24:25]
	s_delay_alu instid0(VALU_DEP_1) | instskip(NEXT) | instid1(VALU_DEP_1)
	v_fma_f64 v[12:13], v[18:19], v[12:13], v[14:15]
	v_add_f64_e32 v[14:15], v[24:25], v[12:13]
	s_delay_alu instid0(VALU_DEP_1) | instskip(SKIP_1) | instid1(VALU_DEP_2)
	v_add_f64_e64 v[22:23], v[20:21], -v[14:15]
	v_add_f64_e64 v[24:25], v[14:15], -v[24:25]
	;; [unrolled: 1-line block ×3, first 2 shown]
	s_delay_alu instid0(VALU_DEP_2) | instskip(NEXT) | instid1(VALU_DEP_2)
	v_add_f64_e64 v[12:13], v[24:25], -v[12:13]
	v_add_f64_e64 v[14:15], v[20:21], -v[14:15]
	s_delay_alu instid0(VALU_DEP_1) | instskip(NEXT) | instid1(VALU_DEP_1)
	v_add_f64_e32 v[12:13], v[12:13], v[14:15]
	v_add_f64_e32 v[12:13], v[22:23], v[12:13]
	s_delay_alu instid0(VALU_DEP_1) | instskip(NEXT) | instid1(VALU_DEP_1)
	v_mul_f64_e32 v[12:13], v[16:17], v[12:13]
	v_add_f64_e32 v[14:15], v[18:19], v[12:13]
	s_delay_alu instid0(VALU_DEP_1) | instskip(SKIP_1) | instid1(VALU_DEP_2)
	v_add_f64_e64 v[16:17], v[14:15], -v[18:19]
	v_mul_f64_e32 v[18:19], v[14:15], v[14:15]
	v_add_f64_e64 v[12:13], v[12:13], -v[16:17]
	s_delay_alu instid0(VALU_DEP_2) | instskip(NEXT) | instid1(VALU_DEP_2)
	v_fma_f64 v[16:17], v[14:15], v[14:15], -v[18:19]
	v_add_f64_e32 v[20:21], v[12:13], v[12:13]
	s_delay_alu instid0(VALU_DEP_1) | instskip(NEXT) | instid1(VALU_DEP_1)
	v_fma_f64 v[16:17], v[14:15], v[20:21], v[16:17]
	v_add_f64_e32 v[20:21], v[18:19], v[16:17]
	s_delay_alu instid0(VALU_DEP_1) | instskip(SKIP_2) | instid1(VALU_DEP_3)
	v_fma_f64 v[22:23], v[20:21], s[18:19], s[16:17]
	v_add_f64_e64 v[18:19], v[20:21], -v[18:19]
	v_mul_f64_e32 v[26:27], v[14:15], v[20:21]
	v_fma_f64 v[22:23], v[20:21], v[22:23], s[22:23]
	s_delay_alu instid0(VALU_DEP_3) | instskip(NEXT) | instid1(VALU_DEP_3)
	v_add_f64_e64 v[16:17], v[16:17], -v[18:19]
	v_fma_f64 v[30:31], v[20:21], v[14:15], -v[26:27]
	s_delay_alu instid0(VALU_DEP_3) | instskip(NEXT) | instid1(VALU_DEP_1)
	v_fma_f64 v[22:23], v[20:21], v[22:23], s[24:25]
	v_fma_f64 v[22:23], v[20:21], v[22:23], s[26:27]
	s_delay_alu instid0(VALU_DEP_1) | instskip(NEXT) | instid1(VALU_DEP_1)
	v_fma_f64 v[22:23], v[20:21], v[22:23], s[28:29]
	v_fma_f64 v[22:23], v[20:21], v[22:23], s[30:31]
	s_delay_alu instid0(VALU_DEP_1) | instskip(NEXT) | instid1(VALU_DEP_1)
	;; [unrolled: 3-line block ×3, first 2 shown]
	v_mul_f64_e32 v[24:25], v[20:21], v[22:23]
	v_fma_f64 v[18:19], v[20:21], v[22:23], -v[24:25]
	v_fma_f64 v[20:21], v[20:21], v[12:13], v[30:31]
	v_ldexp_f64 v[12:13], v[12:13], 1
	s_delay_alu instid0(VALU_DEP_3) | instskip(NEXT) | instid1(VALU_DEP_3)
	v_fma_f64 v[18:19], v[16:17], v[22:23], v[18:19]
	v_fma_f64 v[16:17], v[16:17], v[14:15], v[20:21]
	v_ldexp_f64 v[14:15], v[14:15], 1
	s_delay_alu instid0(VALU_DEP_3) | instskip(NEXT) | instid1(VALU_DEP_3)
	v_add_f64_e32 v[22:23], v[24:25], v[18:19]
	v_add_f64_e32 v[20:21], v[26:27], v[16:17]
	s_delay_alu instid0(VALU_DEP_2) | instskip(SKIP_1) | instid1(VALU_DEP_3)
	v_add_f64_e32 v[28:29], s[2:3], v[22:23]
	v_add_f64_e64 v[24:25], v[22:23], -v[24:25]
	v_add_f64_e64 v[26:27], v[20:21], -v[26:27]
	s_delay_alu instid0(VALU_DEP_3) | instskip(NEXT) | instid1(VALU_DEP_3)
	v_add_f64_e32 v[32:33], s[14:15], v[28:29]
	v_add_f64_e64 v[18:19], v[18:19], -v[24:25]
	s_delay_alu instid0(VALU_DEP_3) | instskip(NEXT) | instid1(VALU_DEP_3)
	v_add_f64_e64 v[16:17], v[16:17], -v[26:27]
	v_add_f64_e64 v[22:23], v[22:23], -v[32:33]
	s_delay_alu instid0(VALU_DEP_3) | instskip(NEXT) | instid1(VALU_DEP_1)
	v_add_f64_e32 v[18:19], s[42:43], v[18:19]
	v_add_f64_e32 v[18:19], v[18:19], v[22:23]
	s_delay_alu instid0(VALU_DEP_1) | instskip(NEXT) | instid1(VALU_DEP_1)
	v_add_f64_e32 v[22:23], v[28:29], v[18:19]
	v_add_f64_e64 v[24:25], v[28:29], -v[22:23]
	v_mul_f64_e32 v[28:29], v[20:21], v[22:23]
	s_delay_alu instid0(VALU_DEP_2) | instskip(NEXT) | instid1(VALU_DEP_2)
	v_add_f64_e32 v[18:19], v[18:19], v[24:25]
	v_fma_f64 v[24:25], v[20:21], v[22:23], -v[28:29]
	s_delay_alu instid0(VALU_DEP_1) | instskip(SKIP_1) | instid1(VALU_DEP_2)
	v_fma_f64 v[18:19], v[20:21], v[18:19], v[24:25]
	v_frexp_exp_i32_f64_e32 v20, v[8:9]
	v_fma_f64 v[16:17], v[16:17], v[22:23], v[18:19]
	s_delay_alu instid0(VALU_DEP_2) | instskip(NEXT) | instid1(VALU_DEP_1)
	v_subrev_co_ci_u32_e64 v20, null, 0, v20, vcc_lo
	v_cvt_f64_i32_e32 v[20:21], v20
	s_delay_alu instid0(VALU_DEP_3) | instskip(NEXT) | instid1(VALU_DEP_2)
	v_add_f64_e32 v[18:19], v[28:29], v[16:17]
	v_mul_f64_e32 v[26:27], s[38:39], v[20:21]
	s_delay_alu instid0(VALU_DEP_2) | instskip(SKIP_1) | instid1(VALU_DEP_2)
	v_add_f64_e32 v[22:23], v[14:15], v[18:19]
	v_add_f64_e64 v[24:25], v[18:19], -v[28:29]
	v_add_f64_e64 v[14:15], v[22:23], -v[14:15]
	s_delay_alu instid0(VALU_DEP_2) | instskip(SKIP_1) | instid1(VALU_DEP_3)
	v_add_f64_e64 v[16:17], v[16:17], -v[24:25]
	v_fma_f64 v[24:25], v[20:21], s[38:39], -v[26:27]
	v_add_f64_e64 v[14:15], v[18:19], -v[14:15]
	s_delay_alu instid0(VALU_DEP_3) | instskip(NEXT) | instid1(VALU_DEP_3)
	v_add_f64_e32 v[12:13], v[12:13], v[16:17]
	v_fma_f64 v[16:17], v[20:21], s[40:41], v[24:25]
	s_delay_alu instid0(VALU_DEP_2) | instskip(NEXT) | instid1(VALU_DEP_2)
	v_add_f64_e32 v[12:13], v[12:13], v[14:15]
	v_add_f64_e32 v[14:15], v[26:27], v[16:17]
	s_delay_alu instid0(VALU_DEP_2) | instskip(NEXT) | instid1(VALU_DEP_2)
	v_add_f64_e32 v[18:19], v[22:23], v[12:13]
	v_add_f64_e64 v[26:27], v[14:15], -v[26:27]
	s_delay_alu instid0(VALU_DEP_2) | instskip(SKIP_1) | instid1(VALU_DEP_3)
	v_add_f64_e32 v[20:21], v[14:15], v[18:19]
	v_add_f64_e64 v[22:23], v[18:19], -v[22:23]
	v_add_f64_e64 v[16:17], v[16:17], -v[26:27]
	s_delay_alu instid0(VALU_DEP_3) | instskip(NEXT) | instid1(VALU_DEP_3)
	v_add_f64_e64 v[24:25], v[20:21], -v[14:15]
	v_add_f64_e64 v[12:13], v[12:13], -v[22:23]
	s_delay_alu instid0(VALU_DEP_2) | instskip(SKIP_1) | instid1(VALU_DEP_3)
	v_add_f64_e64 v[28:29], v[20:21], -v[24:25]
	v_add_f64_e64 v[18:19], v[18:19], -v[24:25]
	v_add_f64_e32 v[22:23], v[16:17], v[12:13]
	s_delay_alu instid0(VALU_DEP_3) | instskip(NEXT) | instid1(VALU_DEP_1)
	v_add_f64_e64 v[14:15], v[14:15], -v[28:29]
	v_add_f64_e32 v[14:15], v[18:19], v[14:15]
	s_delay_alu instid0(VALU_DEP_3) | instskip(NEXT) | instid1(VALU_DEP_2)
	v_add_f64_e64 v[18:19], v[22:23], -v[16:17]
	v_add_f64_e32 v[14:15], v[22:23], v[14:15]
	s_delay_alu instid0(VALU_DEP_2) | instskip(SKIP_1) | instid1(VALU_DEP_3)
	v_add_f64_e64 v[22:23], v[22:23], -v[18:19]
	v_add_f64_e64 v[12:13], v[12:13], -v[18:19]
	v_add_f64_e32 v[24:25], v[20:21], v[14:15]
	s_delay_alu instid0(VALU_DEP_3) | instskip(NEXT) | instid1(VALU_DEP_2)
	v_add_f64_e64 v[16:17], v[16:17], -v[22:23]
	v_add_f64_e64 v[18:19], v[24:25], -v[20:21]
	s_delay_alu instid0(VALU_DEP_2) | instskip(NEXT) | instid1(VALU_DEP_2)
	v_add_f64_e32 v[12:13], v[12:13], v[16:17]
	v_add_f64_e64 v[14:15], v[14:15], -v[18:19]
	s_delay_alu instid0(VALU_DEP_1) | instskip(NEXT) | instid1(VALU_DEP_1)
	v_add_f64_e32 v[12:13], v[12:13], v[14:15]
	v_add_f64_e32 v[14:15], v[24:25], v[12:13]
	s_delay_alu instid0(VALU_DEP_1) | instskip(SKIP_1) | instid1(VALU_DEP_2)
	v_add_f64_e64 v[16:17], v[14:15], -v[24:25]
	v_mul_f64_e32 v[18:19], v[10:11], v[14:15]
	v_add_f64_e64 v[12:13], v[12:13], -v[16:17]
	s_delay_alu instid0(VALU_DEP_2) | instskip(SKIP_1) | instid1(VALU_DEP_2)
	v_fma_f64 v[14:15], v[10:11], v[14:15], -v[18:19]
	v_cmp_class_f64_e64 vcc_lo, v[18:19], 0x204
	v_fma_f64 v[12:13], v[10:11], v[12:13], v[14:15]
	s_delay_alu instid0(VALU_DEP_1) | instskip(SKIP_1) | instid1(VALU_DEP_1)
	v_add_f64_e32 v[14:15], v[18:19], v[12:13]
	s_wait_alu 0xfffd
	v_dual_cndmask_b32 v17, v15, v19 :: v_dual_cndmask_b32 v16, v14, v18
	v_add_f64_e64 v[14:15], v[14:15], -v[18:19]
	v_cmp_eq_f64_e64 s74, |v[8:9]|, 0
	s_delay_alu instid0(VALU_DEP_3) | instskip(NEXT) | instid1(VALU_DEP_3)
	v_cmp_neq_f64_e64 vcc_lo, 0x7ff00000, |v[16:17]|
	v_add_f64_e64 v[12:13], v[12:13], -v[14:15]
	s_wait_alu 0xfffd
	s_delay_alu instid0(VALU_DEP_1) | instskip(SKIP_4) | instid1(VALU_DEP_4)
	v_cndmask_b32_e32 v13, 0, v13, vcc_lo
	v_mul_f64_e32 v[20:21], s[44:45], v[16:17]
	v_cmp_nlt_f64_e64 s0, 0x40900000, v[16:17]
	v_cmp_ngt_f64_e64 s1, 0xc090cc00, v[16:17]
	v_cndmask_b32_e32 v12, 0, v12, vcc_lo
	v_rndne_f64_e32 v[20:21], v[20:21]
	s_and_b32 vcc_lo, s1, s0
	s_wait_alu 0xfffe
	s_delay_alu instid0(VALU_DEP_1) | instskip(SKIP_2) | instid1(VALU_DEP_3)
	v_fma_f64 v[22:23], v[20:21], s[46:47], v[16:17]
	v_cvt_i32_f64_e32 v26, v[20:21]
	v_cmp_neq_f64_e64 s46, v[10:11], |v[10:11]|
	v_fma_f64 v[22:23], v[20:21], s[48:49], v[22:23]
	v_cmp_class_f64_e64 s48, v[8:9], 0x204
	s_delay_alu instid0(VALU_DEP_2) | instskip(NEXT) | instid1(VALU_DEP_1)
	v_fma_f64 v[24:25], v[22:23], s[52:53], s[50:51]
	v_fma_f64 v[24:25], v[22:23], v[24:25], s[54:55]
	s_delay_alu instid0(VALU_DEP_1) | instskip(NEXT) | instid1(VALU_DEP_1)
	v_fma_f64 v[24:25], v[22:23], v[24:25], s[56:57]
	v_fma_f64 v[24:25], v[22:23], v[24:25], s[58:59]
	s_delay_alu instid0(VALU_DEP_1) | instskip(NEXT) | instid1(VALU_DEP_1)
	;; [unrolled: 3-line block ×4, first 2 shown]
	v_fma_f64 v[24:25], v[22:23], v[24:25], s[68:69]
	v_fma_f64 v[24:25], v[22:23], v[24:25], 1.0
	s_delay_alu instid0(VALU_DEP_1) | instskip(NEXT) | instid1(VALU_DEP_1)
	v_fma_f64 v[20:21], v[22:23], v[24:25], 1.0
	v_ldexp_f64 v[18:19], v[20:21], v26
	s_delay_alu instid0(VALU_DEP_1) | instskip(SKIP_1) | instid1(VALU_DEP_2)
	v_cndmask_b32_e64 v14, 0x7ff00000, v19, s0
	v_cmp_lt_f64_e64 s0, |v[8:9]|, 1.0
	v_cndmask_b32_e64 v15, 0, v14, s1
	s_delay_alu instid0(VALU_DEP_4) | instskip(SKIP_1) | instid1(VALU_DEP_2)
	v_cndmask_b32_e32 v14, 0, v18, vcc_lo
	v_cmp_gt_f64_e32 vcc_lo, 0, v[10:11]
	v_fma_f64 v[12:13], v[14:15], v[12:13], v[14:15]
	v_cmp_class_f64_e64 s1, v[14:15], 0x204
	s_xor_b32 s0, s46, s0
	s_wait_alu 0xfffe
	v_cndmask_b32_e64 v16, 0x7ff00000, 0, s0
	v_cmp_neq_f64_e64 s0, |v[8:9]|, 1.0
	s_xor_b32 s46, vcc_lo, s74
	s_or_b32 vcc_lo, s74, s48
	v_cndmask_b32_e64 v13, v13, v15, s1
	s_delay_alu instid0(VALU_DEP_1)
	v_and_b32_e32 v13, 0x7fffffff, v13
	v_cndmask_b32_e64 v15, 0x3ff00000, v16, s0
	v_cmp_class_f64_e64 s0, v[10:11], 0x204
	s_wait_alu 0xfffe
	v_cndmask_b32_e64 v16, 0x7ff00000, 0, s46
	s_wait_alu 0xf1ff
	s_delay_alu instid0(VALU_DEP_2) | instskip(SKIP_1) | instid1(VALU_DEP_1)
	v_cndmask_b32_e64 v13, v13, v15, s0
	s_or_b32 s0, vcc_lo, s0
	v_cndmask_b32_e32 v13, v13, v16, vcc_lo
	v_cmp_o_f64_e64 vcc_lo, |v[8:9]|, v[10:11]
	v_cndmask_b32_e64 v12, v12, v14, s1
	s_wait_alu 0xfffe
	s_delay_alu instid0(VALU_DEP_1)
	v_cndmask_b32_e64 v12, v12, 0, s0
	v_add_co_u32 v6, s0, v6, s71
	s_wait_alu 0xf1ff
	v_add_co_ci_u32_e64 v7, null, 0, v7, s0
	s_wait_alu 0xfffd
	v_cndmask_b32_e32 v8, 0, v12, vcc_lo
	v_cndmask_b32_e32 v9, 0x7ff80000, v13, vcc_lo
	v_add_co_u32 v3, vcc_lo, v3, s72
	s_wait_alu 0xfffd
	v_add_co_ci_u32_e64 v4, null, 0, v4, vcc_lo
	s_delay_alu instid0(VALU_DEP_3) | instskip(NEXT) | instid1(VALU_DEP_2)
	v_add_f64_e32 v[1:2], v[1:2], v[8:9]
	v_cmp_le_u64_e32 vcc_lo, s[6:7], v[3:4]
	s_or_b32 s73, vcc_lo, s73
	s_wait_alu 0xfffe
	s_and_not1_b32 exec_lo, exec_lo, s73
	s_cbranch_execnz .LBB10_2
; %bb.3:
	s_or_b32 exec_lo, exec_lo, s73
.LBB10_4:
	s_delay_alu instid0(SALU_CYCLE_1) | instskip(SKIP_4) | instid1(VALU_DEP_2)
	s_or_b32 exec_lo, exec_lo, s70
	v_mbcnt_lo_u32_b32 v9, -1, 0
	v_and_b32_e32 v10, 31, v0
	s_mov_b32 s0, exec_lo
	s_barrier_signal -1
	v_lshl_or_b32 v5, v9, 2, 64
	v_cmp_gt_u32_e32 vcc_lo, 24, v9
	s_barrier_wait -1
	global_inv scope:SCOPE_SE
	ds_bpermute_b32 v3, v5, v1
	ds_bpermute_b32 v4, v5, v2
	s_wait_dscnt 0x0
	v_add_f64_e32 v[1:2], v[1:2], v[3:4]
	s_wait_alu 0xfffd
	v_cndmask_b32_e64 v3, 0, 8, vcc_lo
	v_cmp_gt_u32_e32 vcc_lo, 28, v9
	s_delay_alu instid0(VALU_DEP_2)
	v_add_lshl_u32 v6, v3, v9, 2
	ds_bpermute_b32 v3, v6, v1
	ds_bpermute_b32 v4, v6, v2
	s_wait_dscnt 0x0
	v_add_f64_e32 v[1:2], v[1:2], v[3:4]
	s_wait_alu 0xfffd
	v_cndmask_b32_e64 v3, 0, 4, vcc_lo
	v_cmp_gt_u32_e32 vcc_lo, 30, v9
	s_delay_alu instid0(VALU_DEP_2)
	v_add_lshl_u32 v7, v3, v9, 2
	ds_bpermute_b32 v3, v7, v1
	ds_bpermute_b32 v4, v7, v2
	s_wait_dscnt 0x0
	v_add_f64_e32 v[1:2], v[1:2], v[3:4]
	s_wait_alu 0xfffd
	v_cndmask_b32_e64 v3, 0, 2, vcc_lo
	v_cmp_ne_u32_e32 vcc_lo, 31, v9
	s_delay_alu instid0(VALU_DEP_2)
	v_add_lshl_u32 v8, v3, v9, 2
	ds_bpermute_b32 v3, v8, v1
	ds_bpermute_b32 v4, v8, v2
	s_wait_dscnt 0x0
	v_add_f64_e32 v[1:2], v[1:2], v[3:4]
	s_wait_alu 0xfffd
	v_add_co_ci_u32_e64 v3, null, 0, v9, vcc_lo
	s_delay_alu instid0(VALU_DEP_1)
	v_lshlrev_b32_e32 v9, 2, v3
	ds_bpermute_b32 v3, v9, v1
	ds_bpermute_b32 v4, v9, v2
	v_cmpx_eq_u32_e32 0, v10
	s_cbranch_execz .LBB10_6
; %bb.5:
	s_wait_dscnt 0x0
	v_add_f64_e32 v[1:2], v[1:2], v[3:4]
	v_lshrrev_b32_e32 v3, 2, v0
	ds_store_b64 v3, v[1:2]
.LBB10_6:
	s_wait_alu 0xfffe
	s_or_b32 exec_lo, exec_lo, s0
	s_and_b32 s0, 0xffff, s33
	s_wait_dscnt 0x1
	v_mov_b32_e32 v2, 0
	s_wait_alu 0xfffe
	s_lshr_b32 s0, s0, 5
	v_mov_b32_e32 v3, 0
	s_wait_alu 0xfffe
	v_cmp_gt_u32_e32 vcc_lo, s0, v0
	s_wait_loadcnt_dscnt 0x0
	s_barrier_signal -1
	s_barrier_wait -1
	global_inv scope:SCOPE_SE
	s_and_saveexec_b32 s0, vcc_lo
; %bb.7:
	v_lshlrev_b32_e32 v1, 3, v10
	ds_load_b64 v[2:3], v1
; %bb.8:
	s_wait_alu 0xfffe
	s_or_b32 exec_lo, exec_lo, s0
	s_delay_alu instid0(SALU_CYCLE_1)
	s_mov_b32 s0, exec_lo
	v_cmpx_gt_u32_e32 32, v0
	s_cbranch_execz .LBB10_10
; %bb.9:
	s_wait_dscnt 0x0
	ds_bpermute_b32 v4, v5, v2
	ds_bpermute_b32 v5, v5, v3
	s_wait_dscnt 0x0
	v_add_f64_e32 v[1:2], v[2:3], v[4:5]
	ds_bpermute_b32 v3, v6, v1
	ds_bpermute_b32 v4, v6, v2
	s_wait_dscnt 0x0
	v_add_f64_e32 v[1:2], v[1:2], v[3:4]
	;; [unrolled: 4-line block ×5, first 2 shown]
.LBB10_10:
	s_wait_alu 0xfffe
	s_or_b32 exec_lo, exec_lo, s0
	s_delay_alu instid0(SALU_CYCLE_1)
	s_mov_b32 s0, exec_lo
	v_cmpx_eq_u32_e32 0, v0
	s_cbranch_execz .LBB10_12
; %bb.11:
	v_div_scale_f64 v[0:1], null, s[12:13], s[12:13], 1.0
	v_div_scale_f64 v[8:9], vcc_lo, 1.0, s[12:13], 1.0
	s_mov_b32 s1, 0x3fe55555
	s_mov_b32 s0, 0x55555555
	;; [unrolled: 1-line block ×6, first 2 shown]
	v_rcp_f64_e32 v[4:5], v[0:1]
	s_delay_alu instid0(TRANS32_DEP_1) | instskip(NEXT) | instid1(VALU_DEP_1)
	v_fma_f64 v[6:7], -v[0:1], v[4:5], 1.0
	v_fma_f64 v[4:5], v[4:5], v[6:7], v[4:5]
	s_delay_alu instid0(VALU_DEP_1) | instskip(NEXT) | instid1(VALU_DEP_1)
	v_fma_f64 v[6:7], -v[0:1], v[4:5], 1.0
	v_fma_f64 v[4:5], v[4:5], v[6:7], v[4:5]
	s_delay_alu instid0(VALU_DEP_1) | instskip(NEXT) | instid1(VALU_DEP_1)
	v_mul_f64_e32 v[6:7], v[8:9], v[4:5]
	v_fma_f64 v[0:1], -v[0:1], v[6:7], v[8:9]
	s_wait_alu 0xfffd
	s_delay_alu instid0(VALU_DEP_1) | instskip(SKIP_2) | instid1(VALU_DEP_2)
	v_div_fmas_f64 v[0:1], v[0:1], v[4:5], v[6:7]
	s_wait_dscnt 0x0
	v_cmp_neq_f64_e32 vcc_lo, 1.0, v[2:3]
	v_div_fixup_f64 v[0:1], v[0:1], s[12:13], 1.0
	s_wait_alu 0xfffd
	s_delay_alu instid0(VALU_DEP_1) | instskip(NEXT) | instid1(VALU_DEP_2)
	v_cndmask_b32_e32 v1, 0x3ff00000, v1, vcc_lo
	v_cndmask_b32_e32 v0, 0, v0, vcc_lo
	s_delay_alu instid0(VALU_DEP_1) | instskip(SKIP_3) | instid1(VALU_DEP_1)
	v_cmp_neq_f64_e32 vcc_lo, 0, v[0:1]
	s_wait_alu 0xfffd
	v_cndmask_b32_e32 v3, 0x3ff00000, v3, vcc_lo
	v_cndmask_b32_e32 v2, 0, v2, vcc_lo
	v_frexp_mant_f64_e64 v[4:5], |v[2:3]|
	s_wait_alu 0xfffe
	s_delay_alu instid0(VALU_DEP_1) | instskip(SKIP_2) | instid1(VALU_DEP_1)
	v_cmp_gt_f64_e32 vcc_lo, s[0:1], v[4:5]
	s_wait_alu 0xfffd
	v_cndmask_b32_e64 v6, 0, 1, vcc_lo
	v_ldexp_f64 v[4:5], v[4:5], v6
	s_delay_alu instid0(VALU_DEP_1) | instskip(SKIP_1) | instid1(VALU_DEP_2)
	v_add_f64_e32 v[6:7], 1.0, v[4:5]
	v_add_f64_e32 v[12:13], -1.0, v[4:5]
	v_rcp_f64_e32 v[8:9], v[6:7]
	v_add_f64_e32 v[14:15], -1.0, v[6:7]
	s_delay_alu instid0(VALU_DEP_1) | instskip(NEXT) | instid1(TRANS32_DEP_1)
	v_add_f64_e64 v[4:5], v[4:5], -v[14:15]
	v_fma_f64 v[10:11], -v[6:7], v[8:9], 1.0
	s_delay_alu instid0(VALU_DEP_1) | instskip(NEXT) | instid1(VALU_DEP_1)
	v_fma_f64 v[8:9], v[10:11], v[8:9], v[8:9]
	v_fma_f64 v[10:11], -v[6:7], v[8:9], 1.0
	s_delay_alu instid0(VALU_DEP_1) | instskip(NEXT) | instid1(VALU_DEP_1)
	v_fma_f64 v[8:9], v[10:11], v[8:9], v[8:9]
	v_mul_f64_e32 v[10:11], v[12:13], v[8:9]
	s_delay_alu instid0(VALU_DEP_1) | instskip(NEXT) | instid1(VALU_DEP_1)
	v_mul_f64_e32 v[16:17], v[6:7], v[10:11]
	v_fma_f64 v[6:7], v[10:11], v[6:7], -v[16:17]
	s_delay_alu instid0(VALU_DEP_1) | instskip(NEXT) | instid1(VALU_DEP_1)
	v_fma_f64 v[4:5], v[10:11], v[4:5], v[6:7]
	v_add_f64_e32 v[6:7], v[16:17], v[4:5]
	s_delay_alu instid0(VALU_DEP_1) | instskip(SKIP_1) | instid1(VALU_DEP_2)
	v_add_f64_e64 v[14:15], v[12:13], -v[6:7]
	v_add_f64_e64 v[16:17], v[6:7], -v[16:17]
	;; [unrolled: 1-line block ×3, first 2 shown]
	s_delay_alu instid0(VALU_DEP_2) | instskip(NEXT) | instid1(VALU_DEP_2)
	v_add_f64_e64 v[4:5], v[16:17], -v[4:5]
	v_add_f64_e64 v[6:7], v[12:13], -v[6:7]
	s_delay_alu instid0(VALU_DEP_1) | instskip(NEXT) | instid1(VALU_DEP_1)
	v_add_f64_e32 v[4:5], v[4:5], v[6:7]
	v_add_f64_e32 v[4:5], v[14:15], v[4:5]
	s_delay_alu instid0(VALU_DEP_1) | instskip(NEXT) | instid1(VALU_DEP_1)
	v_mul_f64_e32 v[4:5], v[8:9], v[4:5]
	v_add_f64_e32 v[6:7], v[10:11], v[4:5]
	s_delay_alu instid0(VALU_DEP_1) | instskip(SKIP_1) | instid1(VALU_DEP_2)
	v_add_f64_e64 v[8:9], v[6:7], -v[10:11]
	v_mul_f64_e32 v[10:11], v[6:7], v[6:7]
	v_add_f64_e64 v[4:5], v[4:5], -v[8:9]
	s_delay_alu instid0(VALU_DEP_2) | instskip(NEXT) | instid1(VALU_DEP_2)
	v_fma_f64 v[8:9], v[6:7], v[6:7], -v[10:11]
	v_add_f64_e32 v[12:13], v[4:5], v[4:5]
	s_delay_alu instid0(VALU_DEP_1) | instskip(NEXT) | instid1(VALU_DEP_1)
	v_fma_f64 v[8:9], v[6:7], v[12:13], v[8:9]
	v_add_f64_e32 v[12:13], v[10:11], v[8:9]
	s_delay_alu instid0(VALU_DEP_1)
	v_fma_f64 v[14:15], v[12:13], s[6:7], s[2:3]
	s_mov_b32 s2, 0x3abe935a
	s_mov_b32 s3, 0x3fbe25e4
	v_add_f64_e64 v[10:11], v[12:13], -v[10:11]
	v_mul_f64_e32 v[20:21], v[6:7], v[12:13]
	s_mov_b32 s6, 0x652b82fe
	s_mov_b32 s7, 0x3ff71547
	s_wait_alu 0xfffe
	s_delay_alu instid0(VALU_DEP_3) | instskip(SKIP_2) | instid1(VALU_DEP_3)
	v_fma_f64 v[14:15], v[12:13], v[14:15], s[2:3]
	s_mov_b32 s2, 0x47e6c9c2
	s_mov_b32 s3, 0x3fc110ef
	v_add_f64_e64 v[8:9], v[8:9], -v[10:11]
	s_wait_alu 0xfffe
	s_delay_alu instid0(VALU_DEP_2) | instskip(SKIP_3) | instid1(VALU_DEP_1)
	v_fma_f64 v[14:15], v[12:13], v[14:15], s[2:3]
	s_mov_b32 s2, 0xcfa74449
	s_mov_b32 s3, 0x3fc3b13b
	s_wait_alu 0xfffe
	v_fma_f64 v[14:15], v[12:13], v[14:15], s[2:3]
	s_mov_b32 s2, 0x71bf3c30
	s_mov_b32 s3, 0x3fc745d1
	s_wait_alu 0xfffe
	s_delay_alu instid0(VALU_DEP_1) | instskip(SKIP_3) | instid1(VALU_DEP_1)
	v_fma_f64 v[14:15], v[12:13], v[14:15], s[2:3]
	s_mov_b32 s2, 0x1c7792ce
	s_mov_b32 s3, 0x3fcc71c7
	s_wait_alu 0xfffe
	v_fma_f64 v[14:15], v[12:13], v[14:15], s[2:3]
	s_mov_b32 s2, 0x924920da
	s_mov_b32 s3, 0x3fd24924
	s_wait_alu 0xfffe
	s_delay_alu instid0(VALU_DEP_1) | instskip(SKIP_3) | instid1(VALU_DEP_1)
	v_fma_f64 v[14:15], v[12:13], v[14:15], s[2:3]
	s_mov_b32 s2, 0x9999999c
	s_mov_b32 s3, 0x3fd99999
	s_wait_alu 0xfffe
	v_fma_f64 v[14:15], v[12:13], v[14:15], s[2:3]
	s_mov_b32 s3, 0x3c7abc9e
	s_mov_b32 s2, 0x3b39803f
	s_delay_alu instid0(VALU_DEP_1) | instskip(NEXT) | instid1(VALU_DEP_1)
	v_mul_f64_e32 v[16:17], v[12:13], v[14:15]
	v_fma_f64 v[10:11], v[12:13], v[14:15], -v[16:17]
	s_delay_alu instid0(VALU_DEP_1) | instskip(NEXT) | instid1(VALU_DEP_1)
	v_fma_f64 v[10:11], v[8:9], v[14:15], v[10:11]
	v_add_f64_e32 v[14:15], v[16:17], v[10:11]
	s_delay_alu instid0(VALU_DEP_1) | instskip(SKIP_3) | instid1(VALU_DEP_2)
	v_add_f64_e32 v[18:19], s[0:1], v[14:15]
	v_add_f64_e64 v[16:17], v[14:15], -v[16:17]
	s_mov_b32 s1, 0xbfe55555
	s_wait_alu 0xfffe
	v_add_f64_e32 v[22:23], s[0:1], v[18:19]
	s_delay_alu instid0(VALU_DEP_2) | instskip(SKIP_3) | instid1(VALU_DEP_3)
	v_add_f64_e64 v[10:11], v[10:11], -v[16:17]
	v_fma_f64 v[16:17], v[12:13], v[6:7], -v[20:21]
	s_mov_b32 s0, 0xd5df274d
	s_mov_b32 s1, 0x3c8543b0
	v_add_f64_e64 v[14:15], v[14:15], -v[22:23]
	s_wait_alu 0xfffe
	s_delay_alu instid0(VALU_DEP_3) | instskip(NEXT) | instid1(VALU_DEP_3)
	v_add_f64_e32 v[10:11], s[0:1], v[10:11]
	v_fma_f64 v[12:13], v[12:13], v[4:5], v[16:17]
	s_mov_b32 s1, 0x3fe62e42
	s_mov_b32 s0, 0xfefa39ef
	v_ldexp_f64 v[4:5], v[4:5], 1
	s_delay_alu instid0(VALU_DEP_3) | instskip(NEXT) | instid1(VALU_DEP_3)
	v_add_f64_e32 v[10:11], v[10:11], v[14:15]
	v_fma_f64 v[8:9], v[8:9], v[6:7], v[12:13]
	v_ldexp_f64 v[6:7], v[6:7], 1
	s_delay_alu instid0(VALU_DEP_3) | instskip(NEXT) | instid1(VALU_DEP_3)
	v_add_f64_e32 v[12:13], v[18:19], v[10:11]
	v_add_f64_e32 v[14:15], v[20:21], v[8:9]
	s_delay_alu instid0(VALU_DEP_2) | instskip(NEXT) | instid1(VALU_DEP_2)
	v_add_f64_e64 v[16:17], v[18:19], -v[12:13]
	v_mul_f64_e32 v[18:19], v[14:15], v[12:13]
	v_add_f64_e64 v[20:21], v[14:15], -v[20:21]
	s_delay_alu instid0(VALU_DEP_3) | instskip(NEXT) | instid1(VALU_DEP_3)
	v_add_f64_e32 v[10:11], v[10:11], v[16:17]
	v_fma_f64 v[16:17], v[14:15], v[12:13], -v[18:19]
	s_delay_alu instid0(VALU_DEP_3) | instskip(NEXT) | instid1(VALU_DEP_2)
	v_add_f64_e64 v[8:9], v[8:9], -v[20:21]
	v_fma_f64 v[10:11], v[14:15], v[10:11], v[16:17]
	s_delay_alu instid0(VALU_DEP_1) | instskip(SKIP_1) | instid1(VALU_DEP_2)
	v_fma_f64 v[8:9], v[8:9], v[12:13], v[10:11]
	v_frexp_exp_i32_f64_e32 v12, v[2:3]
	v_add_f64_e32 v[10:11], v[18:19], v[8:9]
	s_delay_alu instid0(VALU_DEP_2) | instskip(NEXT) | instid1(VALU_DEP_1)
	v_subrev_co_ci_u32_e64 v12, null, 0, v12, vcc_lo
	v_cvt_f64_i32_e32 v[12:13], v12
	s_delay_alu instid0(VALU_DEP_3) | instskip(SKIP_2) | instid1(VALU_DEP_3)
	v_add_f64_e32 v[14:15], v[6:7], v[10:11]
	v_add_f64_e64 v[16:17], v[10:11], -v[18:19]
	s_wait_alu 0xfffe
	v_mul_f64_e32 v[18:19], s[0:1], v[12:13]
	s_delay_alu instid0(VALU_DEP_3) | instskip(NEXT) | instid1(VALU_DEP_3)
	v_add_f64_e64 v[6:7], v[14:15], -v[6:7]
	v_add_f64_e64 v[8:9], v[8:9], -v[16:17]
	s_delay_alu instid0(VALU_DEP_3) | instskip(SKIP_1) | instid1(VALU_DEP_3)
	v_fma_f64 v[16:17], v[12:13], s[0:1], -v[18:19]
	s_mov_b32 s1, 0xbfe62e42
	v_add_f64_e64 v[6:7], v[10:11], -v[6:7]
	s_delay_alu instid0(VALU_DEP_3) | instskip(NEXT) | instid1(VALU_DEP_3)
	v_add_f64_e32 v[4:5], v[4:5], v[8:9]
	v_fma_f64 v[8:9], v[12:13], s[2:3], v[16:17]
	s_mov_b32 s3, 0xbc7abc9e
	s_delay_alu instid0(VALU_DEP_2) | instskip(NEXT) | instid1(VALU_DEP_2)
	v_add_f64_e32 v[4:5], v[4:5], v[6:7]
	v_add_f64_e32 v[6:7], v[18:19], v[8:9]
	s_delay_alu instid0(VALU_DEP_2) | instskip(NEXT) | instid1(VALU_DEP_2)
	v_add_f64_e32 v[10:11], v[14:15], v[4:5]
	v_add_f64_e64 v[18:19], v[6:7], -v[18:19]
	s_delay_alu instid0(VALU_DEP_2) | instskip(SKIP_1) | instid1(VALU_DEP_3)
	v_add_f64_e32 v[12:13], v[6:7], v[10:11]
	v_add_f64_e64 v[14:15], v[10:11], -v[14:15]
	v_add_f64_e64 v[8:9], v[8:9], -v[18:19]
	s_delay_alu instid0(VALU_DEP_3) | instskip(NEXT) | instid1(VALU_DEP_3)
	v_add_f64_e64 v[16:17], v[12:13], -v[6:7]
	v_add_f64_e64 v[4:5], v[4:5], -v[14:15]
	s_delay_alu instid0(VALU_DEP_2) | instskip(SKIP_1) | instid1(VALU_DEP_3)
	v_add_f64_e64 v[20:21], v[12:13], -v[16:17]
	v_add_f64_e64 v[10:11], v[10:11], -v[16:17]
	v_add_f64_e32 v[14:15], v[8:9], v[4:5]
	s_delay_alu instid0(VALU_DEP_3) | instskip(NEXT) | instid1(VALU_DEP_1)
	v_add_f64_e64 v[6:7], v[6:7], -v[20:21]
	v_add_f64_e32 v[6:7], v[10:11], v[6:7]
	s_delay_alu instid0(VALU_DEP_3) | instskip(NEXT) | instid1(VALU_DEP_2)
	v_add_f64_e64 v[10:11], v[14:15], -v[8:9]
	v_add_f64_e32 v[6:7], v[14:15], v[6:7]
	s_delay_alu instid0(VALU_DEP_2) | instskip(SKIP_1) | instid1(VALU_DEP_3)
	v_add_f64_e64 v[14:15], v[14:15], -v[10:11]
	v_add_f64_e64 v[4:5], v[4:5], -v[10:11]
	v_add_f64_e32 v[16:17], v[12:13], v[6:7]
	s_delay_alu instid0(VALU_DEP_3) | instskip(NEXT) | instid1(VALU_DEP_2)
	v_add_f64_e64 v[8:9], v[8:9], -v[14:15]
	v_add_f64_e64 v[10:11], v[16:17], -v[12:13]
	s_delay_alu instid0(VALU_DEP_2) | instskip(NEXT) | instid1(VALU_DEP_2)
	v_add_f64_e32 v[4:5], v[4:5], v[8:9]
	v_add_f64_e64 v[6:7], v[6:7], -v[10:11]
	s_delay_alu instid0(VALU_DEP_1) | instskip(NEXT) | instid1(VALU_DEP_1)
	v_add_f64_e32 v[4:5], v[4:5], v[6:7]
	v_add_f64_e32 v[6:7], v[16:17], v[4:5]
	s_delay_alu instid0(VALU_DEP_1) | instskip(SKIP_1) | instid1(VALU_DEP_2)
	v_add_f64_e64 v[8:9], v[6:7], -v[16:17]
	v_mul_f64_e32 v[10:11], v[0:1], v[6:7]
	v_add_f64_e64 v[4:5], v[4:5], -v[8:9]
	s_delay_alu instid0(VALU_DEP_2) | instskip(SKIP_1) | instid1(VALU_DEP_2)
	v_fma_f64 v[6:7], v[0:1], v[6:7], -v[10:11]
	v_cmp_class_f64_e64 vcc_lo, v[10:11], 0x204
	v_fma_f64 v[4:5], v[0:1], v[4:5], v[6:7]
	s_delay_alu instid0(VALU_DEP_1) | instskip(SKIP_1) | instid1(VALU_DEP_1)
	v_add_f64_e32 v[6:7], v[10:11], v[4:5]
	s_wait_alu 0xfffd
	v_dual_cndmask_b32 v9, v7, v11 :: v_dual_cndmask_b32 v8, v6, v10
	v_add_f64_e64 v[6:7], v[6:7], -v[10:11]
	s_delay_alu instid0(VALU_DEP_2) | instskip(SKIP_1) | instid1(VALU_DEP_3)
	v_mul_f64_e32 v[12:13], s[6:7], v[8:9]
	v_cmp_neq_f64_e64 vcc_lo, 0x7ff00000, |v[8:9]|
	v_add_f64_e64 v[4:5], v[4:5], -v[6:7]
	v_trunc_f64_e32 v[6:7], v[0:1]
	s_delay_alu instid0(VALU_DEP_4) | instskip(SKIP_1) | instid1(VALU_DEP_3)
	v_rndne_f64_e32 v[12:13], v[12:13]
	s_wait_alu 0xfffd
	v_cndmask_b32_e32 v5, 0, v5, vcc_lo
	v_cmp_lt_f64_e64 s6, |v[2:3]|, 1.0
	v_cndmask_b32_e32 v4, 0, v4, vcc_lo
	s_wait_alu 0xfffe
	s_delay_alu instid0(VALU_DEP_4) | instskip(SKIP_3) | instid1(VALU_DEP_2)
	v_fma_f64 v[14:15], v[12:13], s[0:1], v[8:9]
	s_mov_b32 s0, 0xfca7ab0c
	s_mov_b32 s1, 0x3e928af3
	v_cvt_i32_f64_e32 v18, v[12:13]
	v_fma_f64 v[14:15], v[12:13], s[2:3], v[14:15]
	s_mov_b32 s2, 0x6a5dcb37
	s_mov_b32 s3, 0x3e5ade15
	s_wait_alu 0xfffe
	s_delay_alu instid0(VALU_DEP_1)
	v_fma_f64 v[16:17], v[14:15], s[2:3], s[0:1]
	s_mov_b32 s0, 0x623fde64
	s_mov_b32 s1, 0x3ec71dee
	v_cmp_neq_f64_e64 s3, v[0:1], |v[0:1]|
	v_cmp_eq_f64_e64 s2, 0, v[2:3]
	s_wait_alu 0xfffe
	s_delay_alu instid0(VALU_DEP_3)
	v_fma_f64 v[16:17], v[14:15], v[16:17], s[0:1]
	s_mov_b32 s0, 0x7c89e6b0
	s_mov_b32 s1, 0x3efa0199
	s_xor_b32 s3, s3, s6
	v_cmp_class_f64_e64 s6, v[2:3], 0x204
	s_wait_alu 0xfffe
	s_delay_alu instid0(VALU_DEP_2) | instskip(SKIP_3) | instid1(VALU_DEP_1)
	v_fma_f64 v[16:17], v[14:15], v[16:17], s[0:1]
	s_mov_b32 s0, 0x14761f6e
	s_mov_b32 s1, 0x3f2a01a0
	s_wait_alu 0xfffe
	v_fma_f64 v[16:17], v[14:15], v[16:17], s[0:1]
	s_mov_b32 s0, 0x1852b7b0
	s_mov_b32 s1, 0x3f56c16c
	s_wait_alu 0xfffe
	s_delay_alu instid0(VALU_DEP_1) | instskip(SKIP_3) | instid1(VALU_DEP_1)
	v_fma_f64 v[16:17], v[14:15], v[16:17], s[0:1]
	s_mov_b32 s0, 0x11122322
	s_mov_b32 s1, 0x3f811111
	s_wait_alu 0xfffe
	v_fma_f64 v[16:17], v[14:15], v[16:17], s[0:1]
	s_mov_b32 s0, 0x555502a1
	s_mov_b32 s1, 0x3fa55555
	s_wait_alu 0xfffe
	s_delay_alu instid0(VALU_DEP_1) | instskip(SKIP_3) | instid1(VALU_DEP_1)
	v_fma_f64 v[16:17], v[14:15], v[16:17], s[0:1]
	s_mov_b32 s0, 0x55555511
	s_mov_b32 s1, 0x3fc55555
	s_wait_alu 0xfffe
	v_fma_f64 v[16:17], v[14:15], v[16:17], s[0:1]
	s_mov_b32 s0, 11
	s_mov_b32 s1, 0x3fe00000
	s_wait_alu 0xfffe
	s_delay_alu instid0(VALU_DEP_1) | instskip(SKIP_2) | instid1(VALU_DEP_3)
	v_fma_f64 v[16:17], v[14:15], v[16:17], s[0:1]
	v_cmp_nlt_f64_e64 s0, 0x40900000, v[8:9]
	v_cmp_ngt_f64_e64 s1, 0xc090cc00, v[8:9]
	v_fma_f64 v[16:17], v[14:15], v[16:17], 1.0
	s_and_b32 vcc_lo, s1, s0
	s_delay_alu instid0(VALU_DEP_1) | instskip(NEXT) | instid1(VALU_DEP_1)
	v_fma_f64 v[12:13], v[14:15], v[16:17], 1.0
	v_ldexp_f64 v[10:11], v[12:13], v18
	v_mul_f64_e32 v[12:13], 0.5, v[0:1]
	s_delay_alu instid0(VALU_DEP_2) | instskip(NEXT) | instid1(VALU_DEP_2)
	v_cndmask_b32_e64 v11, 0x7ff00000, v11, s0
	v_trunc_f64_e32 v[8:9], v[12:13]
	s_delay_alu instid0(VALU_DEP_2) | instskip(NEXT) | instid1(VALU_DEP_2)
	v_cndmask_b32_e64 v11, 0, v11, s1
	v_cmp_neq_f64_e64 s0, v[8:9], v[12:13]
	v_cndmask_b32_e64 v8, 0x7ff00000, 0, s3
	v_cmp_neq_f64_e64 s3, |v[2:3]|, 1.0
	s_wait_alu 0xf1ff
	s_delay_alu instid0(VALU_DEP_1) | instskip(SKIP_3) | instid1(VALU_DEP_2)
	v_cndmask_b32_e64 v8, 0x3ff00000, v8, s3
	s_wait_alu 0xfffe
	v_cndmask_b32_e32 v10, 0, v10, vcc_lo
	v_cmp_eq_f64_e32 vcc_lo, v[6:7], v[0:1]
	v_fma_f64 v[4:5], v[10:11], v[4:5], v[10:11]
	v_cmp_class_f64_e64 s1, v[10:11], 0x204
	s_and_b32 s0, vcc_lo, s0
	s_wait_alu 0xfffe
	v_cndmask_b32_e64 v6, 0x3ff00000, v3, s0
	v_cndmask_b32_e64 v5, v5, v11, s1
	;; [unrolled: 1-line block ×3, first 2 shown]
	v_cmp_gt_f64_e64 s1, 0, v[0:1]
	s_delay_alu instid0(VALU_DEP_3) | instskip(NEXT) | instid1(VALU_DEP_3)
	v_bfi_b32 v5, 0x7fffffff, v5, v6
	v_cndmask_b32_e32 v7, 0, v4, vcc_lo
	s_delay_alu instid0(VALU_DEP_2) | instskip(SKIP_3) | instid1(VALU_DEP_2)
	v_cndmask_b32_e32 v6, 0x7ff80000, v5, vcc_lo
	v_cmp_gt_f64_e32 vcc_lo, 0, v[2:3]
	s_xor_b32 s1, s1, s2
	s_wait_alu 0xfffd
	v_dual_cndmask_b32 v4, v4, v7 :: v_dual_cndmask_b32 v5, v5, v6
	v_cmp_class_f64_e64 vcc_lo, v[0:1], 0x204
	s_wait_alu 0xfffe
	v_cndmask_b32_e64 v6, 0x7ff00000, 0, s1
	v_cndmask_b32_e64 v7, 0, v3, s0
	s_or_b32 s0, s2, s6
	s_delay_alu instid0(VALU_DEP_1) | instskip(SKIP_3) | instid1(VALU_DEP_1)
	v_bfi_b32 v6, 0x7fffffff, v6, v7
	s_wait_alu 0xfffd
	v_cndmask_b32_e32 v5, v5, v8, vcc_lo
	s_wait_alu 0xfffe
	v_cndmask_b32_e64 v5, v5, v6, s0
	s_or_b32 s0, s0, vcc_lo
	v_cmp_o_f64_e32 vcc_lo, v[2:3], v[0:1]
	s_wait_alu 0xfffe
	v_cndmask_b32_e64 v4, v4, 0, s0
	v_mov_b32_e32 v2, 0
	s_lshl_b64 s[0:1], s[20:21], 3
	s_wait_alu 0xfffe
	s_add_nc_u64 s[0:1], s[4:5], s[0:1]
	s_wait_alu 0xfffd
	v_cndmask_b32_e32 v0, 0, v4, vcc_lo
	v_cndmask_b32_e32 v1, 0x7ff80000, v5, vcc_lo
	global_store_b64 v2, v[0:1], s[0:1]
.LBB10_12:
	s_endpgm
	.section	.rodata,"a",@progbits
	.p2align	6, 0x0
	.amdhsa_kernel _ZN2at6native12_GLOBAL__N_122pdist_kernel_cuda_implIdNS1_5distsIdE1pEEEvPT_PKS6_llS6_dd
		.amdhsa_group_segment_fixed_size 2048
		.amdhsa_private_segment_fixed_size 0
		.amdhsa_kernarg_size 312
		.amdhsa_user_sgpr_count 2
		.amdhsa_user_sgpr_dispatch_ptr 0
		.amdhsa_user_sgpr_queue_ptr 0
		.amdhsa_user_sgpr_kernarg_segment_ptr 1
		.amdhsa_user_sgpr_dispatch_id 0
		.amdhsa_user_sgpr_private_segment_size 0
		.amdhsa_wavefront_size32 1
		.amdhsa_uses_dynamic_stack 0
		.amdhsa_enable_private_segment 0
		.amdhsa_system_sgpr_workgroup_id_x 1
		.amdhsa_system_sgpr_workgroup_id_y 0
		.amdhsa_system_sgpr_workgroup_id_z 0
		.amdhsa_system_sgpr_workgroup_info 0
		.amdhsa_system_vgpr_workitem_id 0
		.amdhsa_next_free_vgpr 34
		.amdhsa_next_free_sgpr 84
		.amdhsa_reserve_vcc 1
		.amdhsa_float_round_mode_32 0
		.amdhsa_float_round_mode_16_64 0
		.amdhsa_float_denorm_mode_32 3
		.amdhsa_float_denorm_mode_16_64 3
		.amdhsa_fp16_overflow 0
		.amdhsa_workgroup_processor_mode 1
		.amdhsa_memory_ordered 1
		.amdhsa_forward_progress 1
		.amdhsa_inst_pref_size 43
		.amdhsa_round_robin_scheduling 0
		.amdhsa_exception_fp_ieee_invalid_op 0
		.amdhsa_exception_fp_denorm_src 0
		.amdhsa_exception_fp_ieee_div_zero 0
		.amdhsa_exception_fp_ieee_overflow 0
		.amdhsa_exception_fp_ieee_underflow 0
		.amdhsa_exception_fp_ieee_inexact 0
		.amdhsa_exception_int_div_zero 0
	.end_amdhsa_kernel
	.section	.text._ZN2at6native12_GLOBAL__N_122pdist_kernel_cuda_implIdNS1_5distsIdE1pEEEvPT_PKS6_llS6_dd,"axG",@progbits,_ZN2at6native12_GLOBAL__N_122pdist_kernel_cuda_implIdNS1_5distsIdE1pEEEvPT_PKS6_llS6_dd,comdat
.Lfunc_end10:
	.size	_ZN2at6native12_GLOBAL__N_122pdist_kernel_cuda_implIdNS1_5distsIdE1pEEEvPT_PKS6_llS6_dd, .Lfunc_end10-_ZN2at6native12_GLOBAL__N_122pdist_kernel_cuda_implIdNS1_5distsIdE1pEEEvPT_PKS6_llS6_dd
                                        ; -- End function
	.set _ZN2at6native12_GLOBAL__N_122pdist_kernel_cuda_implIdNS1_5distsIdE1pEEEvPT_PKS6_llS6_dd.num_vgpr, 34
	.set _ZN2at6native12_GLOBAL__N_122pdist_kernel_cuda_implIdNS1_5distsIdE1pEEEvPT_PKS6_llS6_dd.num_agpr, 0
	.set _ZN2at6native12_GLOBAL__N_122pdist_kernel_cuda_implIdNS1_5distsIdE1pEEEvPT_PKS6_llS6_dd.numbered_sgpr, 84
	.set _ZN2at6native12_GLOBAL__N_122pdist_kernel_cuda_implIdNS1_5distsIdE1pEEEvPT_PKS6_llS6_dd.num_named_barrier, 0
	.set _ZN2at6native12_GLOBAL__N_122pdist_kernel_cuda_implIdNS1_5distsIdE1pEEEvPT_PKS6_llS6_dd.private_seg_size, 0
	.set _ZN2at6native12_GLOBAL__N_122pdist_kernel_cuda_implIdNS1_5distsIdE1pEEEvPT_PKS6_llS6_dd.uses_vcc, 1
	.set _ZN2at6native12_GLOBAL__N_122pdist_kernel_cuda_implIdNS1_5distsIdE1pEEEvPT_PKS6_llS6_dd.uses_flat_scratch, 0
	.set _ZN2at6native12_GLOBAL__N_122pdist_kernel_cuda_implIdNS1_5distsIdE1pEEEvPT_PKS6_llS6_dd.has_dyn_sized_stack, 0
	.set _ZN2at6native12_GLOBAL__N_122pdist_kernel_cuda_implIdNS1_5distsIdE1pEEEvPT_PKS6_llS6_dd.has_recursion, 0
	.set _ZN2at6native12_GLOBAL__N_122pdist_kernel_cuda_implIdNS1_5distsIdE1pEEEvPT_PKS6_llS6_dd.has_indirect_call, 0
	.section	.AMDGPU.csdata,"",@progbits
; Kernel info:
; codeLenInByte = 5380
; TotalNumSgprs: 86
; NumVgprs: 34
; ScratchSize: 0
; MemoryBound: 0
; FloatMode: 240
; IeeeMode: 1
; LDSByteSize: 2048 bytes/workgroup (compile time only)
; SGPRBlocks: 0
; VGPRBlocks: 4
; NumSGPRsForWavesPerEU: 86
; NumVGPRsForWavesPerEU: 34
; Occupancy: 16
; WaveLimiterHint : 0
; COMPUTE_PGM_RSRC2:SCRATCH_EN: 0
; COMPUTE_PGM_RSRC2:USER_SGPR: 2
; COMPUTE_PGM_RSRC2:TRAP_HANDLER: 0
; COMPUTE_PGM_RSRC2:TGID_X_EN: 1
; COMPUTE_PGM_RSRC2:TGID_Y_EN: 0
; COMPUTE_PGM_RSRC2:TGID_Z_EN: 0
; COMPUTE_PGM_RSRC2:TIDIG_COMP_CNT: 0
	.section	.text._ZN2at6native12_GLOBAL__N_122pdist_kernel_cuda_implIdNS1_5distsIdE4zeroEEEvPT_PKS6_llS6_dd,"axG",@progbits,_ZN2at6native12_GLOBAL__N_122pdist_kernel_cuda_implIdNS1_5distsIdE4zeroEEEvPT_PKS6_llS6_dd,comdat
	.globl	_ZN2at6native12_GLOBAL__N_122pdist_kernel_cuda_implIdNS1_5distsIdE4zeroEEEvPT_PKS6_llS6_dd ; -- Begin function _ZN2at6native12_GLOBAL__N_122pdist_kernel_cuda_implIdNS1_5distsIdE4zeroEEEvPT_PKS6_llS6_dd
	.p2align	8
	.type	_ZN2at6native12_GLOBAL__N_122pdist_kernel_cuda_implIdNS1_5distsIdE4zeroEEEvPT_PKS6_llS6_dd,@function
_ZN2at6native12_GLOBAL__N_122pdist_kernel_cuda_implIdNS1_5distsIdE4zeroEEEvPT_PKS6_llS6_dd: ; @_ZN2at6native12_GLOBAL__N_122pdist_kernel_cuda_implIdNS1_5distsIdE4zeroEEEvPT_PKS6_llS6_dd
; %bb.0:
	s_clause 0x1
	s_load_b256 s[4:11], s[0:1], 0x0
	s_load_b32 s12, s[0:1], 0x44
	v_mov_b32_e32 v5, 0
	v_dual_mov_b32 v1, 0 :: v_dual_mov_b32 v6, 0
	s_mov_b32 s2, ttmp9
	s_mov_b32 s3, 0
	s_mov_b32 s13, exec_lo
	s_wait_kmcnt 0x0
	v_cmpx_gt_i64_e64 s[10:11], v[0:1]
	s_cbranch_execz .LBB11_8
; %bb.1:
	s_lshl_b64 s[14:15], s[2:3], 1
	s_load_b128 s[16:19], s[0:1], 0x28
	v_cvt_f64_u32_e32 v[1:2], s15
	v_cvt_f64_u32_e32 v[3:4], s14
	s_mov_b32 s15, s3
	s_delay_alu instid0(VALU_DEP_2) | instskip(NEXT) | instid1(VALU_DEP_1)
	v_ldexp_f64 v[1:2], v[1:2], 32
	v_add_f64_e32 v[1:2], v[1:2], v[3:4]
	s_wait_kmcnt 0x0
	s_delay_alu instid0(VALU_DEP_1) | instskip(NEXT) | instid1(VALU_DEP_1)
	v_add_f64_e64 v[1:2], s[18:19], -v[1:2]
	v_cmp_gt_f64_e32 vcc_lo, 0x10000000, v[1:2]
	s_and_b32 s0, vcc_lo, exec_lo
	s_cselect_b32 s0, 0x100, 0
	s_delay_alu instid0(SALU_CYCLE_1) | instskip(SKIP_2) | instid1(VALU_DEP_1)
	v_ldexp_f64 v[1:2], v[1:2], s0
	s_cselect_b32 s0, 0xffffff80, 0
	s_lshl_b64 s[20:21], s[10:11], 3
	v_rsq_f64_e32 v[3:4], v[1:2]
	v_cmp_class_f64_e64 vcc_lo, v[1:2], 0x260
	s_delay_alu instid0(TRANS32_DEP_1) | instskip(SKIP_1) | instid1(VALU_DEP_1)
	v_mul_f64_e32 v[5:6], v[1:2], v[3:4]
	v_mul_f64_e32 v[3:4], 0.5, v[3:4]
	v_fma_f64 v[7:8], -v[3:4], v[5:6], 0.5
	s_delay_alu instid0(VALU_DEP_1) | instskip(SKIP_1) | instid1(VALU_DEP_2)
	v_fma_f64 v[5:6], v[5:6], v[7:8], v[5:6]
	v_fma_f64 v[3:4], v[3:4], v[7:8], v[3:4]
	v_fma_f64 v[7:8], -v[5:6], v[5:6], v[1:2]
	s_delay_alu instid0(VALU_DEP_1) | instskip(NEXT) | instid1(VALU_DEP_1)
	v_fma_f64 v[5:6], v[7:8], v[3:4], v[5:6]
	v_fma_f64 v[7:8], -v[5:6], v[5:6], v[1:2]
	s_delay_alu instid0(VALU_DEP_1) | instskip(SKIP_2) | instid1(VALU_DEP_2)
	v_fma_f64 v[3:4], v[7:8], v[3:4], v[5:6]
	v_lshlrev_b32_e32 v5, 3, v0
	s_wait_alu 0xfffe
	v_ldexp_f64 v[3:4], v[3:4], s0
	s_delay_alu instid0(VALU_DEP_1) | instskip(NEXT) | instid1(VALU_DEP_1)
	v_dual_cndmask_b32 v2, v4, v2 :: v_dual_cndmask_b32 v1, v3, v1
	v_add_f64_e64 v[1:2], s[16:17], -v[1:2]
	s_mov_b32 s17, s3
	s_delay_alu instid0(VALU_DEP_1) | instskip(NEXT) | instid1(VALU_DEP_1)
	v_trunc_f64_e32 v[1:2], v[1:2]
	v_ldexp_f64 v[3:4], v[1:2], 0xffffffe0
	s_delay_alu instid0(VALU_DEP_1) | instskip(NEXT) | instid1(VALU_DEP_1)
	v_floor_f64_e32 v[3:4], v[3:4]
	v_fma_f64 v[1:2], 0xc1f00000, v[3:4], v[1:2]
	v_cvt_i32_f64_e32 v3, v[3:4]
	s_delay_alu instid0(VALU_DEP_2) | instskip(NEXT) | instid1(VALU_DEP_2)
	v_cvt_u32_f64_e32 v4, v[1:2]
	v_readfirstlane_b32 s19, v3
	v_mov_b32_e32 v1, 0
	v_mov_b32_e32 v2, 0
	v_add_co_u32 v9, s0, s6, v5
	s_wait_alu 0xf1ff
	v_add_co_ci_u32_e64 v10, null, s7, 0, s0
	s_and_b32 s0, s12, 0xffff
	s_wait_alu 0xfffe
	s_lshl_b32 s1, s0, 3
	s_lshl_b32 s14, s0, 3
	v_readfirstlane_b32 s18, v4
	s_add_nc_u64 s[24:25], s[18:19], 1
	s_mul_u64 s[22:23], s[10:11], s[18:19]
	s_mul_u64 s[26:27], s[8:9], s[18:19]
	;; [unrolled: 1-line block ×3, first 2 shown]
	s_lshl_b64 s[8:9], s[22:23], 3
	s_wait_alu 0xfffe
	s_lshr_b32 s16, s19, 31
	s_add_nc_u64 s[22:23], s[24:25], s[2:3]
	s_wait_alu 0xfffe
	s_add_nc_u64 s[16:17], s[18:19], s[16:17]
	s_add_nc_u64 s[6:7], s[6:7], s[8:9]
	s_sub_nc_u64 s[18:19], s[22:23], s[26:27]
	s_wait_alu 0xfffe
	s_lshr_b64 s[16:17], s[16:17], 1
	v_add_co_u32 v3, s0, s6, v5
	s_wait_alu 0xfffe
	s_add_nc_u64 s[16:17], s[18:19], s[16:17]
	v_add_co_ci_u32_e64 v4, null, s7, 0, s0
	s_wait_alu 0xfffe
	s_mul_u64 s[10:11], s[10:11], s[16:17]
	s_add_nc_u64 s[6:7], s[6:7], s[20:21]
	s_wait_alu 0xfffe
	s_lshl_b64 s[10:11], s[10:11], 3
	s_branch .LBB11_4
.LBB11_2:                               ;   in Loop: Header=BB11_4 Depth=1
	s_wait_alu 0xfffe
	s_or_b32 exec_lo, exec_lo, s16
	s_delay_alu instid0(VALU_DEP_1)
	v_dual_mov_b32 v6, v2 :: v_dual_mov_b32 v5, v1
.LBB11_3:                               ;   in Loop: Header=BB11_4 Depth=1
	s_wait_alu 0xfffe
	s_or_b32 exec_lo, exec_lo, s0
	v_add_co_u32 v3, vcc_lo, v3, s14
	s_wait_alu 0xfffd
	v_add_co_ci_u32_e64 v4, null, 0, v4, vcc_lo
	v_add_co_u32 v9, s0, v9, s1
	s_wait_alu 0xf1ff
	v_add_co_ci_u32_e64 v10, null, 0, v10, s0
	s_delay_alu instid0(VALU_DEP_3)
	v_cmp_le_u64_e32 vcc_lo, s[6:7], v[3:4]
	v_dual_mov_b32 v1, v5 :: v_dual_mov_b32 v2, v6
	s_or_b32 s15, vcc_lo, s15
	s_wait_alu 0xfffe
	s_and_not1_b32 exec_lo, exec_lo, s15
	s_cbranch_execz .LBB11_7
.LBB11_4:                               ; =>This Inner Loop Header: Depth=1
	v_add_co_u32 v5, vcc_lo, v9, s8
	s_wait_alu 0xfffd
	v_add_co_ci_u32_e64 v6, null, s9, v10, vcc_lo
	s_wait_alu 0xfffe
	v_add_co_u32 v7, vcc_lo, v9, s10
	s_wait_alu 0xfffd
	v_add_co_ci_u32_e64 v8, null, s11, v10, vcc_lo
	s_clause 0x1
	global_load_b64 v[5:6], v[5:6], off
	global_load_b64 v[7:8], v[7:8], off
	s_mov_b32 s0, exec_lo
	s_wait_loadcnt 0x0
	v_add_f64_e64 v[7:8], v[5:6], -v[7:8]
	s_delay_alu instid0(VALU_DEP_1)
	v_dual_mov_b32 v5, v7 :: v_dual_and_b32 v6, 0x7fffffff, v8
	v_cmpx_o_f64_e32 v[7:8], v[7:8]
	s_cbranch_execz .LBB11_3
; %bb.5:                                ;   in Loop: Header=BB11_4 Depth=1
	s_mov_b32 s16, exec_lo
	v_cmpx_neq_f64_e32 0, v[7:8]
	s_cbranch_execz .LBB11_2
; %bb.6:                                ;   in Loop: Header=BB11_4 Depth=1
	v_add_f64_e32 v[1:2], 1.0, v[1:2]
	s_branch .LBB11_2
.LBB11_7:
	s_or_b32 exec_lo, exec_lo, s15
.LBB11_8:
	s_delay_alu instid0(SALU_CYCLE_1) | instskip(SKIP_4) | instid1(VALU_DEP_2)
	s_or_b32 exec_lo, exec_lo, s13
	v_mbcnt_lo_u32_b32 v9, -1, 0
	v_and_b32_e32 v10, 31, v0
	s_mov_b32 s0, exec_lo
	s_barrier_signal -1
	v_lshl_or_b32 v7, v9, 2, 64
	v_cmp_gt_u32_e32 vcc_lo, 24, v9
	s_barrier_wait -1
	global_inv scope:SCOPE_SE
	ds_bpermute_b32 v1, v7, v5
	ds_bpermute_b32 v2, v7, v6
	s_wait_alu 0xfffd
	v_cndmask_b32_e64 v3, 0, 8, vcc_lo
	v_cmp_gt_u32_e32 vcc_lo, 28, v9
	s_wait_dscnt 0x0
	v_add_f64_e32 v[1:2], v[5:6], v[1:2]
	s_delay_alu instid0(VALU_DEP_3)
	v_add_lshl_u32 v5, v3, v9, 2
	ds_bpermute_b32 v3, v5, v1
	ds_bpermute_b32 v4, v5, v2
	s_wait_dscnt 0x0
	v_add_f64_e32 v[1:2], v[1:2], v[3:4]
	s_wait_alu 0xfffd
	v_cndmask_b32_e64 v3, 0, 4, vcc_lo
	v_cmp_gt_u32_e32 vcc_lo, 30, v9
	s_delay_alu instid0(VALU_DEP_2)
	v_add_lshl_u32 v6, v3, v9, 2
	ds_bpermute_b32 v3, v6, v1
	ds_bpermute_b32 v4, v6, v2
	s_wait_dscnt 0x0
	v_add_f64_e32 v[1:2], v[1:2], v[3:4]
	s_wait_alu 0xfffd
	v_cndmask_b32_e64 v3, 0, 2, vcc_lo
	v_cmp_ne_u32_e32 vcc_lo, 31, v9
	s_delay_alu instid0(VALU_DEP_2)
	v_add_lshl_u32 v8, v3, v9, 2
	ds_bpermute_b32 v3, v8, v1
	ds_bpermute_b32 v4, v8, v2
	s_wait_dscnt 0x0
	v_add_f64_e32 v[1:2], v[1:2], v[3:4]
	s_wait_alu 0xfffd
	v_add_co_ci_u32_e64 v3, null, 0, v9, vcc_lo
	s_delay_alu instid0(VALU_DEP_1)
	v_lshlrev_b32_e32 v9, 2, v3
	ds_bpermute_b32 v3, v9, v1
	ds_bpermute_b32 v4, v9, v2
	v_cmpx_eq_u32_e32 0, v10
	s_cbranch_execz .LBB11_10
; %bb.9:
	s_wait_dscnt 0x0
	v_add_f64_e32 v[1:2], v[1:2], v[3:4]
	v_lshrrev_b32_e32 v3, 2, v0
	ds_store_b64 v3, v[1:2]
.LBB11_10:
	s_wait_alu 0xfffe
	s_or_b32 exec_lo, exec_lo, s0
	s_and_b32 s0, 0xffff, s12
	v_mov_b32_e32 v1, 0
	s_wait_alu 0xfffe
	s_lshr_b32 s0, s0, 5
	v_mov_b32_e32 v2, 0
	s_wait_alu 0xfffe
	v_cmp_gt_u32_e32 vcc_lo, s0, v0
	s_wait_loadcnt_dscnt 0x0
	s_barrier_signal -1
	s_barrier_wait -1
	global_inv scope:SCOPE_SE
	s_and_saveexec_b32 s0, vcc_lo
; %bb.11:
	v_lshlrev_b32_e32 v1, 3, v10
	ds_load_b64 v[1:2], v1
; %bb.12:
	s_wait_alu 0xfffe
	s_or_b32 exec_lo, exec_lo, s0
	s_delay_alu instid0(SALU_CYCLE_1)
	s_mov_b32 s0, exec_lo
	v_cmpx_gt_u32_e32 32, v0
	s_cbranch_execz .LBB11_14
; %bb.13:
	s_wait_dscnt 0x0
	ds_bpermute_b32 v3, v7, v1
	ds_bpermute_b32 v4, v7, v2
	s_wait_dscnt 0x0
	v_add_f64_e32 v[1:2], v[1:2], v[3:4]
	ds_bpermute_b32 v3, v5, v1
	ds_bpermute_b32 v4, v5, v2
	s_wait_dscnt 0x0
	v_add_f64_e32 v[1:2], v[1:2], v[3:4]
	;; [unrolled: 4-line block ×5, first 2 shown]
.LBB11_14:
	s_wait_alu 0xfffe
	s_or_b32 exec_lo, exec_lo, s0
	s_delay_alu instid0(SALU_CYCLE_1)
	s_mov_b32 s0, exec_lo
	v_cmpx_eq_u32_e32 0, v0
	s_cbranch_execz .LBB11_16
; %bb.15:
	v_mov_b32_e32 v0, 0
	s_lshl_b64 s[0:1], s[2:3], 3
	s_wait_alu 0xfffe
	s_add_nc_u64 s[0:1], s[4:5], s[0:1]
	s_wait_dscnt 0x0
	global_store_b64 v0, v[1:2], s[0:1]
.LBB11_16:
	s_endpgm
	.section	.rodata,"a",@progbits
	.p2align	6, 0x0
	.amdhsa_kernel _ZN2at6native12_GLOBAL__N_122pdist_kernel_cuda_implIdNS1_5distsIdE4zeroEEEvPT_PKS6_llS6_dd
		.amdhsa_group_segment_fixed_size 2048
		.amdhsa_private_segment_fixed_size 0
		.amdhsa_kernarg_size 312
		.amdhsa_user_sgpr_count 2
		.amdhsa_user_sgpr_dispatch_ptr 0
		.amdhsa_user_sgpr_queue_ptr 0
		.amdhsa_user_sgpr_kernarg_segment_ptr 1
		.amdhsa_user_sgpr_dispatch_id 0
		.amdhsa_user_sgpr_private_segment_size 0
		.amdhsa_wavefront_size32 1
		.amdhsa_uses_dynamic_stack 0
		.amdhsa_enable_private_segment 0
		.amdhsa_system_sgpr_workgroup_id_x 1
		.amdhsa_system_sgpr_workgroup_id_y 0
		.amdhsa_system_sgpr_workgroup_id_z 0
		.amdhsa_system_sgpr_workgroup_info 0
		.amdhsa_system_vgpr_workitem_id 0
		.amdhsa_next_free_vgpr 11
		.amdhsa_next_free_sgpr 28
		.amdhsa_reserve_vcc 1
		.amdhsa_float_round_mode_32 0
		.amdhsa_float_round_mode_16_64 0
		.amdhsa_float_denorm_mode_32 3
		.amdhsa_float_denorm_mode_16_64 3
		.amdhsa_fp16_overflow 0
		.amdhsa_workgroup_processor_mode 1
		.amdhsa_memory_ordered 1
		.amdhsa_forward_progress 1
		.amdhsa_inst_pref_size 11
		.amdhsa_round_robin_scheduling 0
		.amdhsa_exception_fp_ieee_invalid_op 0
		.amdhsa_exception_fp_denorm_src 0
		.amdhsa_exception_fp_ieee_div_zero 0
		.amdhsa_exception_fp_ieee_overflow 0
		.amdhsa_exception_fp_ieee_underflow 0
		.amdhsa_exception_fp_ieee_inexact 0
		.amdhsa_exception_int_div_zero 0
	.end_amdhsa_kernel
	.section	.text._ZN2at6native12_GLOBAL__N_122pdist_kernel_cuda_implIdNS1_5distsIdE4zeroEEEvPT_PKS6_llS6_dd,"axG",@progbits,_ZN2at6native12_GLOBAL__N_122pdist_kernel_cuda_implIdNS1_5distsIdE4zeroEEEvPT_PKS6_llS6_dd,comdat
.Lfunc_end11:
	.size	_ZN2at6native12_GLOBAL__N_122pdist_kernel_cuda_implIdNS1_5distsIdE4zeroEEEvPT_PKS6_llS6_dd, .Lfunc_end11-_ZN2at6native12_GLOBAL__N_122pdist_kernel_cuda_implIdNS1_5distsIdE4zeroEEEvPT_PKS6_llS6_dd
                                        ; -- End function
	.set _ZN2at6native12_GLOBAL__N_122pdist_kernel_cuda_implIdNS1_5distsIdE4zeroEEEvPT_PKS6_llS6_dd.num_vgpr, 11
	.set _ZN2at6native12_GLOBAL__N_122pdist_kernel_cuda_implIdNS1_5distsIdE4zeroEEEvPT_PKS6_llS6_dd.num_agpr, 0
	.set _ZN2at6native12_GLOBAL__N_122pdist_kernel_cuda_implIdNS1_5distsIdE4zeroEEEvPT_PKS6_llS6_dd.numbered_sgpr, 28
	.set _ZN2at6native12_GLOBAL__N_122pdist_kernel_cuda_implIdNS1_5distsIdE4zeroEEEvPT_PKS6_llS6_dd.num_named_barrier, 0
	.set _ZN2at6native12_GLOBAL__N_122pdist_kernel_cuda_implIdNS1_5distsIdE4zeroEEEvPT_PKS6_llS6_dd.private_seg_size, 0
	.set _ZN2at6native12_GLOBAL__N_122pdist_kernel_cuda_implIdNS1_5distsIdE4zeroEEEvPT_PKS6_llS6_dd.uses_vcc, 1
	.set _ZN2at6native12_GLOBAL__N_122pdist_kernel_cuda_implIdNS1_5distsIdE4zeroEEEvPT_PKS6_llS6_dd.uses_flat_scratch, 0
	.set _ZN2at6native12_GLOBAL__N_122pdist_kernel_cuda_implIdNS1_5distsIdE4zeroEEEvPT_PKS6_llS6_dd.has_dyn_sized_stack, 0
	.set _ZN2at6native12_GLOBAL__N_122pdist_kernel_cuda_implIdNS1_5distsIdE4zeroEEEvPT_PKS6_llS6_dd.has_recursion, 0
	.set _ZN2at6native12_GLOBAL__N_122pdist_kernel_cuda_implIdNS1_5distsIdE4zeroEEEvPT_PKS6_llS6_dd.has_indirect_call, 0
	.section	.AMDGPU.csdata,"",@progbits
; Kernel info:
; codeLenInByte = 1332
; TotalNumSgprs: 30
; NumVgprs: 11
; ScratchSize: 0
; MemoryBound: 0
; FloatMode: 240
; IeeeMode: 1
; LDSByteSize: 2048 bytes/workgroup (compile time only)
; SGPRBlocks: 0
; VGPRBlocks: 1
; NumSGPRsForWavesPerEU: 30
; NumVGPRsForWavesPerEU: 11
; Occupancy: 16
; WaveLimiterHint : 0
; COMPUTE_PGM_RSRC2:SCRATCH_EN: 0
; COMPUTE_PGM_RSRC2:USER_SGPR: 2
; COMPUTE_PGM_RSRC2:TRAP_HANDLER: 0
; COMPUTE_PGM_RSRC2:TGID_X_EN: 1
; COMPUTE_PGM_RSRC2:TGID_Y_EN: 0
; COMPUTE_PGM_RSRC2:TGID_Z_EN: 0
; COMPUTE_PGM_RSRC2:TIDIG_COMP_CNT: 0
	.section	.text._ZN2at6native12_GLOBAL__N_122pdist_kernel_cuda_implIdNS1_5distsIdE3oneEEEvPT_PKS6_llS6_dd,"axG",@progbits,_ZN2at6native12_GLOBAL__N_122pdist_kernel_cuda_implIdNS1_5distsIdE3oneEEEvPT_PKS6_llS6_dd,comdat
	.globl	_ZN2at6native12_GLOBAL__N_122pdist_kernel_cuda_implIdNS1_5distsIdE3oneEEEvPT_PKS6_llS6_dd ; -- Begin function _ZN2at6native12_GLOBAL__N_122pdist_kernel_cuda_implIdNS1_5distsIdE3oneEEEvPT_PKS6_llS6_dd
	.p2align	8
	.type	_ZN2at6native12_GLOBAL__N_122pdist_kernel_cuda_implIdNS1_5distsIdE3oneEEEvPT_PKS6_llS6_dd,@function
_ZN2at6native12_GLOBAL__N_122pdist_kernel_cuda_implIdNS1_5distsIdE3oneEEEvPT_PKS6_llS6_dd: ; @_ZN2at6native12_GLOBAL__N_122pdist_kernel_cuda_implIdNS1_5distsIdE3oneEEEvPT_PKS6_llS6_dd
; %bb.0:
	s_clause 0x1
	s_load_b256 s[4:11], s[0:1], 0x0
	s_load_b32 s12, s[0:1], 0x44
	v_mov_b32_e32 v1, 0
	s_mov_b32 s2, ttmp9
	s_mov_b32 s3, 0
	s_wait_kmcnt 0x0
	s_delay_alu instid0(VALU_DEP_1)
	v_cmp_gt_i64_e32 vcc_lo, s[10:11], v[0:1]
	v_mov_b32_e32 v1, 0
	v_mov_b32_e32 v2, 0
	s_and_saveexec_b32 s13, vcc_lo
	s_cbranch_execz .LBB12_4
; %bb.1:
	s_lshl_b64 s[14:15], s[2:3], 1
	s_load_b128 s[16:19], s[0:1], 0x28
	v_cvt_f64_u32_e32 v[1:2], s15
	v_cvt_f64_u32_e32 v[3:4], s14
	s_mov_b32 s15, s3
	s_delay_alu instid0(VALU_DEP_2) | instskip(NEXT) | instid1(VALU_DEP_1)
	v_ldexp_f64 v[1:2], v[1:2], 32
	v_add_f64_e32 v[1:2], v[1:2], v[3:4]
	s_wait_kmcnt 0x0
	s_delay_alu instid0(VALU_DEP_1) | instskip(NEXT) | instid1(VALU_DEP_1)
	v_add_f64_e64 v[1:2], s[18:19], -v[1:2]
	v_cmp_gt_f64_e32 vcc_lo, 0x10000000, v[1:2]
	s_and_b32 s0, vcc_lo, exec_lo
	s_cselect_b32 s0, 0x100, 0
	s_delay_alu instid0(SALU_CYCLE_1) | instskip(SKIP_2) | instid1(VALU_DEP_1)
	v_ldexp_f64 v[1:2], v[1:2], s0
	s_cselect_b32 s0, 0xffffff80, 0
	s_lshl_b64 s[20:21], s[10:11], 3
	v_rsq_f64_e32 v[3:4], v[1:2]
	v_cmp_class_f64_e64 vcc_lo, v[1:2], 0x260
	s_delay_alu instid0(TRANS32_DEP_1) | instskip(SKIP_1) | instid1(VALU_DEP_1)
	v_mul_f64_e32 v[5:6], v[1:2], v[3:4]
	v_mul_f64_e32 v[3:4], 0.5, v[3:4]
	v_fma_f64 v[7:8], -v[3:4], v[5:6], 0.5
	s_delay_alu instid0(VALU_DEP_1) | instskip(SKIP_1) | instid1(VALU_DEP_2)
	v_fma_f64 v[5:6], v[5:6], v[7:8], v[5:6]
	v_fma_f64 v[3:4], v[3:4], v[7:8], v[3:4]
	v_fma_f64 v[7:8], -v[5:6], v[5:6], v[1:2]
	s_delay_alu instid0(VALU_DEP_1) | instskip(NEXT) | instid1(VALU_DEP_1)
	v_fma_f64 v[5:6], v[7:8], v[3:4], v[5:6]
	v_fma_f64 v[7:8], -v[5:6], v[5:6], v[1:2]
	s_delay_alu instid0(VALU_DEP_1) | instskip(SKIP_2) | instid1(VALU_DEP_2)
	v_fma_f64 v[3:4], v[7:8], v[3:4], v[5:6]
	v_lshlrev_b32_e32 v7, 3, v0
	s_wait_alu 0xfffe
	v_ldexp_f64 v[3:4], v[3:4], s0
	s_delay_alu instid0(VALU_DEP_1) | instskip(NEXT) | instid1(VALU_DEP_1)
	v_dual_cndmask_b32 v2, v4, v2 :: v_dual_cndmask_b32 v1, v3, v1
	v_add_f64_e64 v[1:2], s[16:17], -v[1:2]
	s_mov_b32 s17, s3
	s_delay_alu instid0(VALU_DEP_1) | instskip(NEXT) | instid1(VALU_DEP_1)
	v_trunc_f64_e32 v[1:2], v[1:2]
	v_ldexp_f64 v[3:4], v[1:2], 0xffffffe0
	s_delay_alu instid0(VALU_DEP_1) | instskip(NEXT) | instid1(VALU_DEP_1)
	v_floor_f64_e32 v[3:4], v[3:4]
	v_fma_f64 v[1:2], 0xc1f00000, v[3:4], v[1:2]
	v_cvt_i32_f64_e32 v3, v[3:4]
	s_delay_alu instid0(VALU_DEP_2) | instskip(NEXT) | instid1(VALU_DEP_2)
	v_cvt_u32_f64_e32 v4, v[1:2]
	v_readfirstlane_b32 s19, v3
	v_mov_b32_e32 v1, 0
	v_mov_b32_e32 v2, 0
	v_add_co_u32 v5, s0, s6, v7
	s_wait_alu 0xf1ff
	v_add_co_ci_u32_e64 v6, null, s7, 0, s0
	s_and_b32 s0, s12, 0xffff
	s_wait_alu 0xfffe
	s_lshl_b32 s1, s0, 3
	s_lshl_b32 s14, s0, 3
	v_readfirstlane_b32 s18, v4
	s_add_nc_u64 s[24:25], s[18:19], 1
	s_mul_u64 s[22:23], s[10:11], s[18:19]
	s_mul_u64 s[26:27], s[8:9], s[18:19]
	;; [unrolled: 1-line block ×3, first 2 shown]
	s_lshl_b64 s[8:9], s[22:23], 3
	s_wait_alu 0xfffe
	s_lshr_b32 s16, s19, 31
	s_add_nc_u64 s[22:23], s[24:25], s[2:3]
	s_wait_alu 0xfffe
	s_add_nc_u64 s[16:17], s[18:19], s[16:17]
	s_add_nc_u64 s[6:7], s[6:7], s[8:9]
	s_sub_nc_u64 s[18:19], s[22:23], s[26:27]
	s_wait_alu 0xfffe
	s_lshr_b64 s[16:17], s[16:17], 1
	v_add_co_u32 v3, s0, s6, v7
	s_wait_alu 0xfffe
	s_add_nc_u64 s[16:17], s[18:19], s[16:17]
	v_add_co_ci_u32_e64 v4, null, s7, 0, s0
	s_wait_alu 0xfffe
	s_mul_u64 s[10:11], s[10:11], s[16:17]
	s_add_nc_u64 s[6:7], s[6:7], s[20:21]
	s_wait_alu 0xfffe
	s_lshl_b64 s[10:11], s[10:11], 3
.LBB12_2:                               ; =>This Inner Loop Header: Depth=1
	v_add_co_u32 v7, vcc_lo, v5, s8
	s_wait_alu 0xfffd
	v_add_co_ci_u32_e64 v8, null, s9, v6, vcc_lo
	s_wait_alu 0xfffe
	v_add_co_u32 v9, vcc_lo, v5, s10
	s_wait_alu 0xfffd
	v_add_co_ci_u32_e64 v10, null, s11, v6, vcc_lo
	s_clause 0x1
	global_load_b64 v[7:8], v[7:8], off
	global_load_b64 v[9:10], v[9:10], off
	v_add_co_u32 v3, vcc_lo, v3, s14
	s_wait_alu 0xfffd
	v_add_co_ci_u32_e64 v4, null, 0, v4, vcc_lo
	v_add_co_u32 v5, s0, v5, s1
	s_wait_alu 0xf1ff
	v_add_co_ci_u32_e64 v6, null, 0, v6, s0
	s_delay_alu instid0(VALU_DEP_3) | instskip(SKIP_3) | instid1(VALU_DEP_1)
	v_cmp_le_u64_e32 vcc_lo, s[6:7], v[3:4]
	s_or_b32 s15, vcc_lo, s15
	s_wait_loadcnt 0x0
	v_add_f64_e64 v[7:8], v[7:8], -v[9:10]
	v_add_f64_e64 v[1:2], v[1:2], |v[7:8]|
	s_wait_alu 0xfffe
	s_and_not1_b32 exec_lo, exec_lo, s15
	s_cbranch_execnz .LBB12_2
; %bb.3:
	s_or_b32 exec_lo, exec_lo, s15
.LBB12_4:
	s_delay_alu instid0(SALU_CYCLE_1) | instskip(SKIP_4) | instid1(VALU_DEP_2)
	s_or_b32 exec_lo, exec_lo, s13
	v_mbcnt_lo_u32_b32 v9, -1, 0
	v_and_b32_e32 v10, 31, v0
	s_mov_b32 s0, exec_lo
	s_barrier_signal -1
	v_lshl_or_b32 v5, v9, 2, 64
	v_cmp_gt_u32_e32 vcc_lo, 24, v9
	s_barrier_wait -1
	global_inv scope:SCOPE_SE
	ds_bpermute_b32 v3, v5, v1
	ds_bpermute_b32 v4, v5, v2
	s_wait_dscnt 0x0
	v_add_f64_e32 v[1:2], v[1:2], v[3:4]
	s_wait_alu 0xfffd
	v_cndmask_b32_e64 v3, 0, 8, vcc_lo
	v_cmp_gt_u32_e32 vcc_lo, 28, v9
	s_delay_alu instid0(VALU_DEP_2)
	v_add_lshl_u32 v6, v3, v9, 2
	ds_bpermute_b32 v3, v6, v1
	ds_bpermute_b32 v4, v6, v2
	s_wait_dscnt 0x0
	v_add_f64_e32 v[1:2], v[1:2], v[3:4]
	s_wait_alu 0xfffd
	v_cndmask_b32_e64 v3, 0, 4, vcc_lo
	v_cmp_gt_u32_e32 vcc_lo, 30, v9
	s_delay_alu instid0(VALU_DEP_2)
	v_add_lshl_u32 v7, v3, v9, 2
	ds_bpermute_b32 v3, v7, v1
	ds_bpermute_b32 v4, v7, v2
	s_wait_dscnt 0x0
	v_add_f64_e32 v[1:2], v[1:2], v[3:4]
	s_wait_alu 0xfffd
	v_cndmask_b32_e64 v3, 0, 2, vcc_lo
	v_cmp_ne_u32_e32 vcc_lo, 31, v9
	s_delay_alu instid0(VALU_DEP_2)
	v_add_lshl_u32 v8, v3, v9, 2
	ds_bpermute_b32 v3, v8, v1
	ds_bpermute_b32 v4, v8, v2
	s_wait_dscnt 0x0
	v_add_f64_e32 v[1:2], v[1:2], v[3:4]
	s_wait_alu 0xfffd
	v_add_co_ci_u32_e64 v3, null, 0, v9, vcc_lo
	s_delay_alu instid0(VALU_DEP_1)
	v_lshlrev_b32_e32 v9, 2, v3
	ds_bpermute_b32 v3, v9, v1
	ds_bpermute_b32 v4, v9, v2
	v_cmpx_eq_u32_e32 0, v10
	s_cbranch_execz .LBB12_6
; %bb.5:
	s_wait_dscnt 0x0
	v_add_f64_e32 v[1:2], v[1:2], v[3:4]
	v_lshrrev_b32_e32 v3, 2, v0
	ds_store_b64 v3, v[1:2]
.LBB12_6:
	s_wait_alu 0xfffe
	s_or_b32 exec_lo, exec_lo, s0
	s_and_b32 s0, 0xffff, s12
	v_mov_b32_e32 v1, 0
	s_wait_alu 0xfffe
	s_lshr_b32 s0, s0, 5
	v_mov_b32_e32 v2, 0
	s_wait_alu 0xfffe
	v_cmp_gt_u32_e32 vcc_lo, s0, v0
	s_wait_loadcnt_dscnt 0x0
	s_barrier_signal -1
	s_barrier_wait -1
	global_inv scope:SCOPE_SE
	s_and_saveexec_b32 s0, vcc_lo
; %bb.7:
	v_lshlrev_b32_e32 v1, 3, v10
	ds_load_b64 v[1:2], v1
; %bb.8:
	s_wait_alu 0xfffe
	s_or_b32 exec_lo, exec_lo, s0
	s_delay_alu instid0(SALU_CYCLE_1)
	s_mov_b32 s0, exec_lo
	v_cmpx_gt_u32_e32 32, v0
	s_cbranch_execz .LBB12_10
; %bb.9:
	s_wait_dscnt 0x0
	ds_bpermute_b32 v3, v5, v1
	ds_bpermute_b32 v4, v5, v2
	s_wait_dscnt 0x0
	v_add_f64_e32 v[1:2], v[1:2], v[3:4]
	ds_bpermute_b32 v3, v6, v1
	ds_bpermute_b32 v4, v6, v2
	s_wait_dscnt 0x0
	v_add_f64_e32 v[1:2], v[1:2], v[3:4]
	;; [unrolled: 4-line block ×5, first 2 shown]
.LBB12_10:
	s_wait_alu 0xfffe
	s_or_b32 exec_lo, exec_lo, s0
	s_delay_alu instid0(SALU_CYCLE_1)
	s_mov_b32 s0, exec_lo
	v_cmpx_eq_u32_e32 0, v0
	s_cbranch_execz .LBB12_12
; %bb.11:
	v_mov_b32_e32 v0, 0
	s_lshl_b64 s[0:1], s[2:3], 3
	s_wait_alu 0xfffe
	s_add_nc_u64 s[0:1], s[4:5], s[0:1]
	s_wait_dscnt 0x0
	global_store_b64 v0, v[1:2], s[0:1]
.LBB12_12:
	s_endpgm
	.section	.rodata,"a",@progbits
	.p2align	6, 0x0
	.amdhsa_kernel _ZN2at6native12_GLOBAL__N_122pdist_kernel_cuda_implIdNS1_5distsIdE3oneEEEvPT_PKS6_llS6_dd
		.amdhsa_group_segment_fixed_size 2048
		.amdhsa_private_segment_fixed_size 0
		.amdhsa_kernarg_size 312
		.amdhsa_user_sgpr_count 2
		.amdhsa_user_sgpr_dispatch_ptr 0
		.amdhsa_user_sgpr_queue_ptr 0
		.amdhsa_user_sgpr_kernarg_segment_ptr 1
		.amdhsa_user_sgpr_dispatch_id 0
		.amdhsa_user_sgpr_private_segment_size 0
		.amdhsa_wavefront_size32 1
		.amdhsa_uses_dynamic_stack 0
		.amdhsa_enable_private_segment 0
		.amdhsa_system_sgpr_workgroup_id_x 1
		.amdhsa_system_sgpr_workgroup_id_y 0
		.amdhsa_system_sgpr_workgroup_id_z 0
		.amdhsa_system_sgpr_workgroup_info 0
		.amdhsa_system_vgpr_workitem_id 0
		.amdhsa_next_free_vgpr 11
		.amdhsa_next_free_sgpr 28
		.amdhsa_reserve_vcc 1
		.amdhsa_float_round_mode_32 0
		.amdhsa_float_round_mode_16_64 0
		.amdhsa_float_denorm_mode_32 3
		.amdhsa_float_denorm_mode_16_64 3
		.amdhsa_fp16_overflow 0
		.amdhsa_workgroup_processor_mode 1
		.amdhsa_memory_ordered 1
		.amdhsa_forward_progress 1
		.amdhsa_inst_pref_size 10
		.amdhsa_round_robin_scheduling 0
		.amdhsa_exception_fp_ieee_invalid_op 0
		.amdhsa_exception_fp_denorm_src 0
		.amdhsa_exception_fp_ieee_div_zero 0
		.amdhsa_exception_fp_ieee_overflow 0
		.amdhsa_exception_fp_ieee_underflow 0
		.amdhsa_exception_fp_ieee_inexact 0
		.amdhsa_exception_int_div_zero 0
	.end_amdhsa_kernel
	.section	.text._ZN2at6native12_GLOBAL__N_122pdist_kernel_cuda_implIdNS1_5distsIdE3oneEEEvPT_PKS6_llS6_dd,"axG",@progbits,_ZN2at6native12_GLOBAL__N_122pdist_kernel_cuda_implIdNS1_5distsIdE3oneEEEvPT_PKS6_llS6_dd,comdat
.Lfunc_end12:
	.size	_ZN2at6native12_GLOBAL__N_122pdist_kernel_cuda_implIdNS1_5distsIdE3oneEEEvPT_PKS6_llS6_dd, .Lfunc_end12-_ZN2at6native12_GLOBAL__N_122pdist_kernel_cuda_implIdNS1_5distsIdE3oneEEEvPT_PKS6_llS6_dd
                                        ; -- End function
	.set _ZN2at6native12_GLOBAL__N_122pdist_kernel_cuda_implIdNS1_5distsIdE3oneEEEvPT_PKS6_llS6_dd.num_vgpr, 11
	.set _ZN2at6native12_GLOBAL__N_122pdist_kernel_cuda_implIdNS1_5distsIdE3oneEEEvPT_PKS6_llS6_dd.num_agpr, 0
	.set _ZN2at6native12_GLOBAL__N_122pdist_kernel_cuda_implIdNS1_5distsIdE3oneEEEvPT_PKS6_llS6_dd.numbered_sgpr, 28
	.set _ZN2at6native12_GLOBAL__N_122pdist_kernel_cuda_implIdNS1_5distsIdE3oneEEEvPT_PKS6_llS6_dd.num_named_barrier, 0
	.set _ZN2at6native12_GLOBAL__N_122pdist_kernel_cuda_implIdNS1_5distsIdE3oneEEEvPT_PKS6_llS6_dd.private_seg_size, 0
	.set _ZN2at6native12_GLOBAL__N_122pdist_kernel_cuda_implIdNS1_5distsIdE3oneEEEvPT_PKS6_llS6_dd.uses_vcc, 1
	.set _ZN2at6native12_GLOBAL__N_122pdist_kernel_cuda_implIdNS1_5distsIdE3oneEEEvPT_PKS6_llS6_dd.uses_flat_scratch, 0
	.set _ZN2at6native12_GLOBAL__N_122pdist_kernel_cuda_implIdNS1_5distsIdE3oneEEEvPT_PKS6_llS6_dd.has_dyn_sized_stack, 0
	.set _ZN2at6native12_GLOBAL__N_122pdist_kernel_cuda_implIdNS1_5distsIdE3oneEEEvPT_PKS6_llS6_dd.has_recursion, 0
	.set _ZN2at6native12_GLOBAL__N_122pdist_kernel_cuda_implIdNS1_5distsIdE3oneEEEvPT_PKS6_llS6_dd.has_indirect_call, 0
	.section	.AMDGPU.csdata,"",@progbits
; Kernel info:
; codeLenInByte = 1252
; TotalNumSgprs: 30
; NumVgprs: 11
; ScratchSize: 0
; MemoryBound: 0
; FloatMode: 240
; IeeeMode: 1
; LDSByteSize: 2048 bytes/workgroup (compile time only)
; SGPRBlocks: 0
; VGPRBlocks: 1
; NumSGPRsForWavesPerEU: 30
; NumVGPRsForWavesPerEU: 11
; Occupancy: 16
; WaveLimiterHint : 0
; COMPUTE_PGM_RSRC2:SCRATCH_EN: 0
; COMPUTE_PGM_RSRC2:USER_SGPR: 2
; COMPUTE_PGM_RSRC2:TRAP_HANDLER: 0
; COMPUTE_PGM_RSRC2:TGID_X_EN: 1
; COMPUTE_PGM_RSRC2:TGID_Y_EN: 0
; COMPUTE_PGM_RSRC2:TGID_Z_EN: 0
; COMPUTE_PGM_RSRC2:TIDIG_COMP_CNT: 0
	.section	.text._ZN2at6native12_GLOBAL__N_122pdist_kernel_cuda_implIdNS1_5distsIdE3twoEEEvPT_PKS6_llS6_dd,"axG",@progbits,_ZN2at6native12_GLOBAL__N_122pdist_kernel_cuda_implIdNS1_5distsIdE3twoEEEvPT_PKS6_llS6_dd,comdat
	.globl	_ZN2at6native12_GLOBAL__N_122pdist_kernel_cuda_implIdNS1_5distsIdE3twoEEEvPT_PKS6_llS6_dd ; -- Begin function _ZN2at6native12_GLOBAL__N_122pdist_kernel_cuda_implIdNS1_5distsIdE3twoEEEvPT_PKS6_llS6_dd
	.p2align	8
	.type	_ZN2at6native12_GLOBAL__N_122pdist_kernel_cuda_implIdNS1_5distsIdE3twoEEEvPT_PKS6_llS6_dd,@function
_ZN2at6native12_GLOBAL__N_122pdist_kernel_cuda_implIdNS1_5distsIdE3twoEEEvPT_PKS6_llS6_dd: ; @_ZN2at6native12_GLOBAL__N_122pdist_kernel_cuda_implIdNS1_5distsIdE3twoEEEvPT_PKS6_llS6_dd
; %bb.0:
	s_clause 0x1
	s_load_b256 s[4:11], s[0:1], 0x0
	s_load_b32 s12, s[0:1], 0x44
	v_mov_b32_e32 v1, 0
	s_mov_b32 s2, ttmp9
	s_mov_b32 s3, 0
	s_wait_kmcnt 0x0
	s_delay_alu instid0(VALU_DEP_1)
	v_cmp_gt_i64_e32 vcc_lo, s[10:11], v[0:1]
	v_mov_b32_e32 v1, 0
	v_mov_b32_e32 v2, 0
	s_and_saveexec_b32 s13, vcc_lo
	s_cbranch_execz .LBB13_4
; %bb.1:
	s_lshl_b64 s[14:15], s[2:3], 1
	s_load_b128 s[16:19], s[0:1], 0x28
	v_cvt_f64_u32_e32 v[1:2], s15
	v_cvt_f64_u32_e32 v[3:4], s14
	s_mov_b32 s15, s3
	s_delay_alu instid0(VALU_DEP_2) | instskip(NEXT) | instid1(VALU_DEP_1)
	v_ldexp_f64 v[1:2], v[1:2], 32
	v_add_f64_e32 v[1:2], v[1:2], v[3:4]
	s_wait_kmcnt 0x0
	s_delay_alu instid0(VALU_DEP_1) | instskip(NEXT) | instid1(VALU_DEP_1)
	v_add_f64_e64 v[1:2], s[18:19], -v[1:2]
	v_cmp_gt_f64_e32 vcc_lo, 0x10000000, v[1:2]
	s_and_b32 s0, vcc_lo, exec_lo
	s_cselect_b32 s0, 0x100, 0
	s_delay_alu instid0(SALU_CYCLE_1) | instskip(SKIP_2) | instid1(VALU_DEP_1)
	v_ldexp_f64 v[1:2], v[1:2], s0
	s_cselect_b32 s0, 0xffffff80, 0
	s_lshl_b64 s[20:21], s[10:11], 3
	v_rsq_f64_e32 v[3:4], v[1:2]
	v_cmp_class_f64_e64 vcc_lo, v[1:2], 0x260
	s_delay_alu instid0(TRANS32_DEP_1) | instskip(SKIP_1) | instid1(VALU_DEP_1)
	v_mul_f64_e32 v[5:6], v[1:2], v[3:4]
	v_mul_f64_e32 v[3:4], 0.5, v[3:4]
	v_fma_f64 v[7:8], -v[3:4], v[5:6], 0.5
	s_delay_alu instid0(VALU_DEP_1) | instskip(SKIP_1) | instid1(VALU_DEP_2)
	v_fma_f64 v[5:6], v[5:6], v[7:8], v[5:6]
	v_fma_f64 v[3:4], v[3:4], v[7:8], v[3:4]
	v_fma_f64 v[7:8], -v[5:6], v[5:6], v[1:2]
	s_delay_alu instid0(VALU_DEP_1) | instskip(NEXT) | instid1(VALU_DEP_1)
	v_fma_f64 v[5:6], v[7:8], v[3:4], v[5:6]
	v_fma_f64 v[7:8], -v[5:6], v[5:6], v[1:2]
	s_delay_alu instid0(VALU_DEP_1) | instskip(SKIP_2) | instid1(VALU_DEP_2)
	v_fma_f64 v[3:4], v[7:8], v[3:4], v[5:6]
	v_lshlrev_b32_e32 v7, 3, v0
	s_wait_alu 0xfffe
	v_ldexp_f64 v[3:4], v[3:4], s0
	s_delay_alu instid0(VALU_DEP_1) | instskip(NEXT) | instid1(VALU_DEP_1)
	v_dual_cndmask_b32 v2, v4, v2 :: v_dual_cndmask_b32 v1, v3, v1
	v_add_f64_e64 v[1:2], s[16:17], -v[1:2]
	s_mov_b32 s17, s3
	s_delay_alu instid0(VALU_DEP_1) | instskip(NEXT) | instid1(VALU_DEP_1)
	v_trunc_f64_e32 v[1:2], v[1:2]
	v_ldexp_f64 v[3:4], v[1:2], 0xffffffe0
	s_delay_alu instid0(VALU_DEP_1) | instskip(NEXT) | instid1(VALU_DEP_1)
	v_floor_f64_e32 v[3:4], v[3:4]
	v_fma_f64 v[1:2], 0xc1f00000, v[3:4], v[1:2]
	v_cvt_i32_f64_e32 v3, v[3:4]
	s_delay_alu instid0(VALU_DEP_2) | instskip(NEXT) | instid1(VALU_DEP_2)
	v_cvt_u32_f64_e32 v4, v[1:2]
	v_readfirstlane_b32 s19, v3
	v_mov_b32_e32 v1, 0
	v_mov_b32_e32 v2, 0
	v_add_co_u32 v5, s0, s6, v7
	s_wait_alu 0xf1ff
	v_add_co_ci_u32_e64 v6, null, s7, 0, s0
	s_and_b32 s0, s12, 0xffff
	s_wait_alu 0xfffe
	s_lshl_b32 s1, s0, 3
	s_lshl_b32 s14, s0, 3
	v_readfirstlane_b32 s18, v4
	s_add_nc_u64 s[24:25], s[18:19], 1
	s_mul_u64 s[22:23], s[10:11], s[18:19]
	s_mul_u64 s[26:27], s[8:9], s[18:19]
	;; [unrolled: 1-line block ×3, first 2 shown]
	s_lshl_b64 s[8:9], s[22:23], 3
	s_wait_alu 0xfffe
	s_lshr_b32 s16, s19, 31
	s_add_nc_u64 s[22:23], s[24:25], s[2:3]
	s_wait_alu 0xfffe
	s_add_nc_u64 s[16:17], s[18:19], s[16:17]
	s_add_nc_u64 s[6:7], s[6:7], s[8:9]
	s_sub_nc_u64 s[18:19], s[22:23], s[26:27]
	s_wait_alu 0xfffe
	s_lshr_b64 s[16:17], s[16:17], 1
	v_add_co_u32 v3, s0, s6, v7
	s_wait_alu 0xfffe
	s_add_nc_u64 s[16:17], s[18:19], s[16:17]
	v_add_co_ci_u32_e64 v4, null, s7, 0, s0
	s_wait_alu 0xfffe
	s_mul_u64 s[10:11], s[10:11], s[16:17]
	s_add_nc_u64 s[6:7], s[6:7], s[20:21]
	s_wait_alu 0xfffe
	s_lshl_b64 s[10:11], s[10:11], 3
.LBB13_2:                               ; =>This Inner Loop Header: Depth=1
	v_add_co_u32 v7, vcc_lo, v5, s8
	s_wait_alu 0xfffd
	v_add_co_ci_u32_e64 v8, null, s9, v6, vcc_lo
	s_wait_alu 0xfffe
	v_add_co_u32 v9, vcc_lo, v5, s10
	s_wait_alu 0xfffd
	v_add_co_ci_u32_e64 v10, null, s11, v6, vcc_lo
	s_clause 0x1
	global_load_b64 v[7:8], v[7:8], off
	global_load_b64 v[9:10], v[9:10], off
	v_add_co_u32 v3, vcc_lo, v3, s14
	s_wait_alu 0xfffd
	v_add_co_ci_u32_e64 v4, null, 0, v4, vcc_lo
	v_add_co_u32 v5, s0, v5, s1
	s_wait_alu 0xf1ff
	v_add_co_ci_u32_e64 v6, null, 0, v6, s0
	s_delay_alu instid0(VALU_DEP_3) | instskip(SKIP_3) | instid1(VALU_DEP_1)
	v_cmp_le_u64_e32 vcc_lo, s[6:7], v[3:4]
	s_or_b32 s15, vcc_lo, s15
	s_wait_loadcnt 0x0
	v_add_f64_e64 v[7:8], v[7:8], -v[9:10]
	v_fma_f64 v[1:2], v[7:8], v[7:8], v[1:2]
	s_wait_alu 0xfffe
	s_and_not1_b32 exec_lo, exec_lo, s15
	s_cbranch_execnz .LBB13_2
; %bb.3:
	s_or_b32 exec_lo, exec_lo, s15
.LBB13_4:
	s_delay_alu instid0(SALU_CYCLE_1) | instskip(SKIP_4) | instid1(VALU_DEP_2)
	s_or_b32 exec_lo, exec_lo, s13
	v_mbcnt_lo_u32_b32 v9, -1, 0
	v_and_b32_e32 v10, 31, v0
	s_mov_b32 s0, exec_lo
	s_barrier_signal -1
	v_lshl_or_b32 v5, v9, 2, 64
	v_cmp_gt_u32_e32 vcc_lo, 24, v9
	s_barrier_wait -1
	global_inv scope:SCOPE_SE
	ds_bpermute_b32 v3, v5, v1
	ds_bpermute_b32 v4, v5, v2
	s_wait_dscnt 0x0
	v_add_f64_e32 v[1:2], v[1:2], v[3:4]
	s_wait_alu 0xfffd
	v_cndmask_b32_e64 v3, 0, 8, vcc_lo
	v_cmp_gt_u32_e32 vcc_lo, 28, v9
	s_delay_alu instid0(VALU_DEP_2)
	v_add_lshl_u32 v6, v3, v9, 2
	ds_bpermute_b32 v3, v6, v1
	ds_bpermute_b32 v4, v6, v2
	s_wait_dscnt 0x0
	v_add_f64_e32 v[1:2], v[1:2], v[3:4]
	s_wait_alu 0xfffd
	v_cndmask_b32_e64 v3, 0, 4, vcc_lo
	v_cmp_gt_u32_e32 vcc_lo, 30, v9
	s_delay_alu instid0(VALU_DEP_2)
	v_add_lshl_u32 v7, v3, v9, 2
	ds_bpermute_b32 v3, v7, v1
	ds_bpermute_b32 v4, v7, v2
	s_wait_dscnt 0x0
	v_add_f64_e32 v[1:2], v[1:2], v[3:4]
	s_wait_alu 0xfffd
	v_cndmask_b32_e64 v3, 0, 2, vcc_lo
	v_cmp_ne_u32_e32 vcc_lo, 31, v9
	s_delay_alu instid0(VALU_DEP_2)
	v_add_lshl_u32 v8, v3, v9, 2
	ds_bpermute_b32 v3, v8, v1
	ds_bpermute_b32 v4, v8, v2
	s_wait_dscnt 0x0
	v_add_f64_e32 v[1:2], v[1:2], v[3:4]
	s_wait_alu 0xfffd
	v_add_co_ci_u32_e64 v3, null, 0, v9, vcc_lo
	s_delay_alu instid0(VALU_DEP_1)
	v_lshlrev_b32_e32 v9, 2, v3
	ds_bpermute_b32 v3, v9, v1
	ds_bpermute_b32 v4, v9, v2
	v_cmpx_eq_u32_e32 0, v10
	s_cbranch_execz .LBB13_6
; %bb.5:
	s_wait_dscnt 0x0
	v_add_f64_e32 v[1:2], v[1:2], v[3:4]
	v_lshrrev_b32_e32 v3, 2, v0
	ds_store_b64 v3, v[1:2]
.LBB13_6:
	s_wait_alu 0xfffe
	s_or_b32 exec_lo, exec_lo, s0
	s_and_b32 s0, 0xffff, s12
	v_mov_b32_e32 v1, 0
	s_wait_alu 0xfffe
	s_lshr_b32 s0, s0, 5
	v_mov_b32_e32 v2, 0
	s_wait_alu 0xfffe
	v_cmp_gt_u32_e32 vcc_lo, s0, v0
	s_wait_loadcnt_dscnt 0x0
	s_barrier_signal -1
	s_barrier_wait -1
	global_inv scope:SCOPE_SE
	s_and_saveexec_b32 s0, vcc_lo
; %bb.7:
	v_lshlrev_b32_e32 v1, 3, v10
	ds_load_b64 v[1:2], v1
; %bb.8:
	s_wait_alu 0xfffe
	s_or_b32 exec_lo, exec_lo, s0
	s_delay_alu instid0(SALU_CYCLE_1)
	s_mov_b32 s0, exec_lo
	v_cmpx_gt_u32_e32 32, v0
	s_cbranch_execz .LBB13_10
; %bb.9:
	s_wait_dscnt 0x0
	ds_bpermute_b32 v3, v5, v1
	ds_bpermute_b32 v4, v5, v2
	s_wait_dscnt 0x0
	v_add_f64_e32 v[1:2], v[1:2], v[3:4]
	ds_bpermute_b32 v3, v6, v1
	ds_bpermute_b32 v4, v6, v2
	s_wait_dscnt 0x0
	v_add_f64_e32 v[1:2], v[1:2], v[3:4]
	ds_bpermute_b32 v3, v7, v1
	ds_bpermute_b32 v4, v7, v2
	s_wait_dscnt 0x0
	v_add_f64_e32 v[1:2], v[1:2], v[3:4]
	ds_bpermute_b32 v3, v8, v1
	ds_bpermute_b32 v4, v8, v2
	s_wait_dscnt 0x0
	v_add_f64_e32 v[1:2], v[1:2], v[3:4]
	ds_bpermute_b32 v3, v9, v1
	ds_bpermute_b32 v4, v9, v2
	s_wait_dscnt 0x0
	v_add_f64_e32 v[1:2], v[1:2], v[3:4]
.LBB13_10:
	s_wait_alu 0xfffe
	s_or_b32 exec_lo, exec_lo, s0
	s_delay_alu instid0(SALU_CYCLE_1)
	s_mov_b32 s0, exec_lo
	v_cmpx_eq_u32_e32 0, v0
	s_cbranch_execz .LBB13_12
; %bb.11:
	s_wait_dscnt 0x0
	s_delay_alu instid0(VALU_DEP_2)
	v_cmp_gt_f64_e32 vcc_lo, 0x10000000, v[1:2]
	s_lshl_b64 s[0:1], s[2:3], 3
	s_wait_alu 0xfffe
	s_add_nc_u64 s[0:1], s[4:5], s[0:1]
	s_wait_alu 0xfffd
	v_cndmask_b32_e64 v0, 0, 0x100, vcc_lo
	s_delay_alu instid0(VALU_DEP_1) | instskip(NEXT) | instid1(VALU_DEP_1)
	v_ldexp_f64 v[0:1], v[1:2], v0
	v_rsq_f64_e32 v[2:3], v[0:1]
	s_delay_alu instid0(TRANS32_DEP_1) | instskip(SKIP_1) | instid1(VALU_DEP_1)
	v_mul_f64_e32 v[4:5], v[0:1], v[2:3]
	v_mul_f64_e32 v[2:3], 0.5, v[2:3]
	v_fma_f64 v[6:7], -v[2:3], v[4:5], 0.5
	s_delay_alu instid0(VALU_DEP_1) | instskip(SKIP_1) | instid1(VALU_DEP_2)
	v_fma_f64 v[4:5], v[4:5], v[6:7], v[4:5]
	v_fma_f64 v[2:3], v[2:3], v[6:7], v[2:3]
	v_fma_f64 v[6:7], -v[4:5], v[4:5], v[0:1]
	s_delay_alu instid0(VALU_DEP_1) | instskip(NEXT) | instid1(VALU_DEP_1)
	v_fma_f64 v[4:5], v[6:7], v[2:3], v[4:5]
	v_fma_f64 v[6:7], -v[4:5], v[4:5], v[0:1]
	s_delay_alu instid0(VALU_DEP_1) | instskip(SKIP_2) | instid1(VALU_DEP_2)
	v_fma_f64 v[2:3], v[6:7], v[2:3], v[4:5]
	v_cndmask_b32_e64 v4, 0, 0xffffff80, vcc_lo
	v_cmp_class_f64_e64 vcc_lo, v[0:1], 0x260
	v_ldexp_f64 v[2:3], v[2:3], v4
	s_wait_alu 0xfffd
	s_delay_alu instid0(VALU_DEP_1) | instskip(NEXT) | instid1(VALU_DEP_2)
	v_dual_mov_b32 v4, 0 :: v_dual_cndmask_b32 v1, v3, v1
	v_cndmask_b32_e32 v0, v2, v0, vcc_lo
	global_store_b64 v4, v[0:1], s[0:1]
.LBB13_12:
	s_endpgm
	.section	.rodata,"a",@progbits
	.p2align	6, 0x0
	.amdhsa_kernel _ZN2at6native12_GLOBAL__N_122pdist_kernel_cuda_implIdNS1_5distsIdE3twoEEEvPT_PKS6_llS6_dd
		.amdhsa_group_segment_fixed_size 2048
		.amdhsa_private_segment_fixed_size 0
		.amdhsa_kernarg_size 312
		.amdhsa_user_sgpr_count 2
		.amdhsa_user_sgpr_dispatch_ptr 0
		.amdhsa_user_sgpr_queue_ptr 0
		.amdhsa_user_sgpr_kernarg_segment_ptr 1
		.amdhsa_user_sgpr_dispatch_id 0
		.amdhsa_user_sgpr_private_segment_size 0
		.amdhsa_wavefront_size32 1
		.amdhsa_uses_dynamic_stack 0
		.amdhsa_enable_private_segment 0
		.amdhsa_system_sgpr_workgroup_id_x 1
		.amdhsa_system_sgpr_workgroup_id_y 0
		.amdhsa_system_sgpr_workgroup_id_z 0
		.amdhsa_system_sgpr_workgroup_info 0
		.amdhsa_system_vgpr_workitem_id 0
		.amdhsa_next_free_vgpr 11
		.amdhsa_next_free_sgpr 28
		.amdhsa_reserve_vcc 1
		.amdhsa_float_round_mode_32 0
		.amdhsa_float_round_mode_16_64 0
		.amdhsa_float_denorm_mode_32 3
		.amdhsa_float_denorm_mode_16_64 3
		.amdhsa_fp16_overflow 0
		.amdhsa_workgroup_processor_mode 1
		.amdhsa_memory_ordered 1
		.amdhsa_forward_progress 1
		.amdhsa_inst_pref_size 12
		.amdhsa_round_robin_scheduling 0
		.amdhsa_exception_fp_ieee_invalid_op 0
		.amdhsa_exception_fp_denorm_src 0
		.amdhsa_exception_fp_ieee_div_zero 0
		.amdhsa_exception_fp_ieee_overflow 0
		.amdhsa_exception_fp_ieee_underflow 0
		.amdhsa_exception_fp_ieee_inexact 0
		.amdhsa_exception_int_div_zero 0
	.end_amdhsa_kernel
	.section	.text._ZN2at6native12_GLOBAL__N_122pdist_kernel_cuda_implIdNS1_5distsIdE3twoEEEvPT_PKS6_llS6_dd,"axG",@progbits,_ZN2at6native12_GLOBAL__N_122pdist_kernel_cuda_implIdNS1_5distsIdE3twoEEEvPT_PKS6_llS6_dd,comdat
.Lfunc_end13:
	.size	_ZN2at6native12_GLOBAL__N_122pdist_kernel_cuda_implIdNS1_5distsIdE3twoEEEvPT_PKS6_llS6_dd, .Lfunc_end13-_ZN2at6native12_GLOBAL__N_122pdist_kernel_cuda_implIdNS1_5distsIdE3twoEEEvPT_PKS6_llS6_dd
                                        ; -- End function
	.set _ZN2at6native12_GLOBAL__N_122pdist_kernel_cuda_implIdNS1_5distsIdE3twoEEEvPT_PKS6_llS6_dd.num_vgpr, 11
	.set _ZN2at6native12_GLOBAL__N_122pdist_kernel_cuda_implIdNS1_5distsIdE3twoEEEvPT_PKS6_llS6_dd.num_agpr, 0
	.set _ZN2at6native12_GLOBAL__N_122pdist_kernel_cuda_implIdNS1_5distsIdE3twoEEEvPT_PKS6_llS6_dd.numbered_sgpr, 28
	.set _ZN2at6native12_GLOBAL__N_122pdist_kernel_cuda_implIdNS1_5distsIdE3twoEEEvPT_PKS6_llS6_dd.num_named_barrier, 0
	.set _ZN2at6native12_GLOBAL__N_122pdist_kernel_cuda_implIdNS1_5distsIdE3twoEEEvPT_PKS6_llS6_dd.private_seg_size, 0
	.set _ZN2at6native12_GLOBAL__N_122pdist_kernel_cuda_implIdNS1_5distsIdE3twoEEEvPT_PKS6_llS6_dd.uses_vcc, 1
	.set _ZN2at6native12_GLOBAL__N_122pdist_kernel_cuda_implIdNS1_5distsIdE3twoEEEvPT_PKS6_llS6_dd.uses_flat_scratch, 0
	.set _ZN2at6native12_GLOBAL__N_122pdist_kernel_cuda_implIdNS1_5distsIdE3twoEEEvPT_PKS6_llS6_dd.has_dyn_sized_stack, 0
	.set _ZN2at6native12_GLOBAL__N_122pdist_kernel_cuda_implIdNS1_5distsIdE3twoEEEvPT_PKS6_llS6_dd.has_recursion, 0
	.set _ZN2at6native12_GLOBAL__N_122pdist_kernel_cuda_implIdNS1_5distsIdE3twoEEEvPT_PKS6_llS6_dd.has_indirect_call, 0
	.section	.AMDGPU.csdata,"",@progbits
; Kernel info:
; codeLenInByte = 1424
; TotalNumSgprs: 30
; NumVgprs: 11
; ScratchSize: 0
; MemoryBound: 0
; FloatMode: 240
; IeeeMode: 1
; LDSByteSize: 2048 bytes/workgroup (compile time only)
; SGPRBlocks: 0
; VGPRBlocks: 1
; NumSGPRsForWavesPerEU: 30
; NumVGPRsForWavesPerEU: 11
; Occupancy: 16
; WaveLimiterHint : 0
; COMPUTE_PGM_RSRC2:SCRATCH_EN: 0
; COMPUTE_PGM_RSRC2:USER_SGPR: 2
; COMPUTE_PGM_RSRC2:TRAP_HANDLER: 0
; COMPUTE_PGM_RSRC2:TGID_X_EN: 1
; COMPUTE_PGM_RSRC2:TGID_Y_EN: 0
; COMPUTE_PGM_RSRC2:TGID_Z_EN: 0
; COMPUTE_PGM_RSRC2:TIDIG_COMP_CNT: 0
	.section	.text._ZN2at6native12_GLOBAL__N_122pdist_kernel_cuda_implIdNS1_5distsIdE3infEEEvPT_PKS6_llS6_dd,"axG",@progbits,_ZN2at6native12_GLOBAL__N_122pdist_kernel_cuda_implIdNS1_5distsIdE3infEEEvPT_PKS6_llS6_dd,comdat
	.globl	_ZN2at6native12_GLOBAL__N_122pdist_kernel_cuda_implIdNS1_5distsIdE3infEEEvPT_PKS6_llS6_dd ; -- Begin function _ZN2at6native12_GLOBAL__N_122pdist_kernel_cuda_implIdNS1_5distsIdE3infEEEvPT_PKS6_llS6_dd
	.p2align	8
	.type	_ZN2at6native12_GLOBAL__N_122pdist_kernel_cuda_implIdNS1_5distsIdE3infEEEvPT_PKS6_llS6_dd,@function
_ZN2at6native12_GLOBAL__N_122pdist_kernel_cuda_implIdNS1_5distsIdE3infEEEvPT_PKS6_llS6_dd: ; @_ZN2at6native12_GLOBAL__N_122pdist_kernel_cuda_implIdNS1_5distsIdE3infEEEvPT_PKS6_llS6_dd
; %bb.0:
	s_clause 0x1
	s_load_b256 s[4:11], s[0:1], 0x0
	s_load_b32 s12, s[0:1], 0x44
	v_mov_b32_e32 v1, 0
	s_mov_b32 s2, ttmp9
	s_mov_b32 s3, 0
	s_wait_kmcnt 0x0
	s_delay_alu instid0(VALU_DEP_1)
	v_cmp_gt_i64_e32 vcc_lo, s[10:11], v[0:1]
	v_mov_b32_e32 v1, 0
	v_mov_b32_e32 v2, 0
	s_and_saveexec_b32 s13, vcc_lo
	s_cbranch_execz .LBB14_4
; %bb.1:
	s_lshl_b64 s[14:15], s[2:3], 1
	s_load_b128 s[16:19], s[0:1], 0x28
	v_cvt_f64_u32_e32 v[1:2], s15
	v_cvt_f64_u32_e32 v[3:4], s14
	s_mov_b32 s1, s3
	s_delay_alu instid0(VALU_DEP_2) | instskip(NEXT) | instid1(VALU_DEP_1)
	v_ldexp_f64 v[1:2], v[1:2], 32
	v_add_f64_e32 v[1:2], v[1:2], v[3:4]
	s_wait_kmcnt 0x0
	s_delay_alu instid0(VALU_DEP_1) | instskip(NEXT) | instid1(VALU_DEP_1)
	v_add_f64_e64 v[1:2], s[18:19], -v[1:2]
	v_cmp_gt_f64_e32 vcc_lo, 0x10000000, v[1:2]
	s_and_b32 s0, vcc_lo, exec_lo
	s_cselect_b32 s0, 0x100, 0
	s_delay_alu instid0(SALU_CYCLE_1) | instskip(SKIP_2) | instid1(VALU_DEP_1)
	v_ldexp_f64 v[1:2], v[1:2], s0
	s_cselect_b32 s0, 0xffffff80, 0
	s_lshl_b64 s[18:19], s[10:11], 3
	v_rsq_f64_e32 v[3:4], v[1:2]
	v_cmp_class_f64_e64 vcc_lo, v[1:2], 0x260
	s_delay_alu instid0(TRANS32_DEP_1) | instskip(SKIP_1) | instid1(VALU_DEP_1)
	v_mul_f64_e32 v[5:6], v[1:2], v[3:4]
	v_mul_f64_e32 v[3:4], 0.5, v[3:4]
	v_fma_f64 v[7:8], -v[3:4], v[5:6], 0.5
	s_delay_alu instid0(VALU_DEP_1) | instskip(SKIP_1) | instid1(VALU_DEP_2)
	v_fma_f64 v[5:6], v[5:6], v[7:8], v[5:6]
	v_fma_f64 v[3:4], v[3:4], v[7:8], v[3:4]
	v_fma_f64 v[7:8], -v[5:6], v[5:6], v[1:2]
	s_delay_alu instid0(VALU_DEP_1) | instskip(NEXT) | instid1(VALU_DEP_1)
	v_fma_f64 v[5:6], v[7:8], v[3:4], v[5:6]
	v_fma_f64 v[7:8], -v[5:6], v[5:6], v[1:2]
	s_delay_alu instid0(VALU_DEP_1) | instskip(SKIP_2) | instid1(VALU_DEP_2)
	v_fma_f64 v[3:4], v[7:8], v[3:4], v[5:6]
	v_lshlrev_b32_e32 v7, 3, v0
	s_wait_alu 0xfffe
	v_ldexp_f64 v[3:4], v[3:4], s0
	s_delay_alu instid0(VALU_DEP_1) | instskip(NEXT) | instid1(VALU_DEP_1)
	v_dual_cndmask_b32 v2, v4, v2 :: v_dual_cndmask_b32 v1, v3, v1
	v_add_f64_e64 v[1:2], s[16:17], -v[1:2]
	s_delay_alu instid0(VALU_DEP_1) | instskip(NEXT) | instid1(VALU_DEP_1)
	v_trunc_f64_e32 v[1:2], v[1:2]
	v_ldexp_f64 v[3:4], v[1:2], 0xffffffe0
	s_delay_alu instid0(VALU_DEP_1) | instskip(NEXT) | instid1(VALU_DEP_1)
	v_floor_f64_e32 v[3:4], v[3:4]
	v_fma_f64 v[1:2], 0xc1f00000, v[3:4], v[1:2]
	v_cvt_i32_f64_e32 v3, v[3:4]
	s_delay_alu instid0(VALU_DEP_2) | instskip(NEXT) | instid1(VALU_DEP_2)
	v_cvt_u32_f64_e32 v4, v[1:2]
	v_readfirstlane_b32 s17, v3
	v_mov_b32_e32 v1, 0
	v_mov_b32_e32 v2, 0
	v_add_co_u32 v5, s0, s6, v7
	s_wait_alu 0xf1ff
	v_add_co_ci_u32_e64 v6, null, s7, 0, s0
	s_and_b32 s0, s12, 0xffff
	s_wait_alu 0xfffe
	s_lshl_b32 s14, s0, 3
	s_lshl_b32 s15, s0, 3
	v_readfirstlane_b32 s16, v4
	s_add_nc_u64 s[22:23], s[16:17], 1
	s_mul_u64 s[20:21], s[10:11], s[16:17]
	s_mul_u64 s[24:25], s[8:9], s[16:17]
	;; [unrolled: 1-line block ×3, first 2 shown]
	s_lshl_b64 s[8:9], s[20:21], 3
	s_wait_alu 0xfffe
	s_lshr_b32 s0, s17, 31
	s_add_nc_u64 s[20:21], s[22:23], s[2:3]
	s_wait_alu 0xfffe
	s_add_nc_u64 s[0:1], s[16:17], s[0:1]
	s_sub_nc_u64 s[16:17], s[20:21], s[24:25]
	s_wait_alu 0xfffe
	s_lshr_b64 s[0:1], s[0:1], 1
	s_add_nc_u64 s[6:7], s[6:7], s[8:9]
	s_wait_alu 0xfffe
	s_add_nc_u64 s[0:1], s[16:17], s[0:1]
	v_add_co_u32 v3, s16, s6, v7
	s_wait_alu 0xf1ff
	v_add_co_ci_u32_e64 v4, null, s7, 0, s16
	s_wait_alu 0xfffe
	s_mul_u64 s[0:1], s[10:11], s[0:1]
	s_add_nc_u64 s[6:7], s[6:7], s[18:19]
	s_wait_alu 0xfffe
	s_lshl_b64 s[10:11], s[0:1], 3
	s_mov_b32 s16, s3
.LBB14_2:                               ; =>This Inner Loop Header: Depth=1
	v_add_co_u32 v7, vcc_lo, v5, s8
	s_wait_alu 0xfffd
	v_add_co_ci_u32_e64 v8, null, s9, v6, vcc_lo
	s_wait_alu 0xfffe
	v_add_co_u32 v9, vcc_lo, v5, s10
	s_wait_alu 0xfffd
	v_add_co_ci_u32_e64 v10, null, s11, v6, vcc_lo
	s_clause 0x1
	global_load_b64 v[7:8], v[7:8], off
	global_load_b64 v[9:10], v[9:10], off
	v_add_co_u32 v3, s0, v3, s15
	s_wait_alu 0xf1ff
	v_add_co_ci_u32_e64 v4, null, 0, v4, s0
	v_add_co_u32 v5, s0, v5, s14
	s_wait_alu 0xf1ff
	v_add_co_ci_u32_e64 v6, null, 0, v6, s0
	s_delay_alu instid0(VALU_DEP_3) | instskip(SKIP_3) | instid1(VALU_DEP_1)
	v_cmp_le_u64_e64 s1, s[6:7], v[3:4]
	s_or_b32 s16, s1, s16
	s_wait_loadcnt 0x0
	v_add_f64_e64 v[7:8], v[7:8], -v[9:10]
	v_cmp_gt_f64_e64 vcc_lo, |v[7:8]|, v[1:2]
	v_and_b32_e32 v9, 0x7fffffff, v8
	s_wait_alu 0xfffd
	s_delay_alu instid0(VALU_DEP_1)
	v_dual_cndmask_b32 v2, v2, v9 :: v_dual_cndmask_b32 v1, v1, v7
	s_wait_alu 0xfffe
	s_and_not1_b32 exec_lo, exec_lo, s16
	s_cbranch_execnz .LBB14_2
; %bb.3:
	s_or_b32 exec_lo, exec_lo, s16
.LBB14_4:
	s_delay_alu instid0(SALU_CYCLE_1)
	s_or_b32 exec_lo, exec_lo, s13
	v_mbcnt_lo_u32_b32 v9, -1, 0
	s_barrier_signal -1
	s_barrier_wait -1
	global_inv scope:SCOPE_SE
	v_lshl_or_b32 v5, v9, 2, 64
	v_cmp_gt_u32_e64 s0, 24, v9
	v_and_b32_e32 v10, 31, v0
	ds_bpermute_b32 v3, v5, v1
	ds_bpermute_b32 v4, v5, v2
	s_wait_alu 0xf1ff
	v_cndmask_b32_e64 v6, 0, 8, s0
	v_cmp_gt_u32_e64 s0, 28, v9
	s_delay_alu instid0(VALU_DEP_2) | instskip(SKIP_1) | instid1(VALU_DEP_2)
	v_add_lshl_u32 v6, v6, v9, 2
	s_wait_alu 0xf1ff
	v_cndmask_b32_e64 v7, 0, 4, s0
	v_cmp_gt_u32_e64 s0, 30, v9
	s_delay_alu instid0(VALU_DEP_2) | instskip(SKIP_1) | instid1(VALU_DEP_2)
	v_add_lshl_u32 v7, v7, v9, 2
	s_wait_alu 0xf1ff
	v_cndmask_b32_e64 v8, 0, 2, s0
	v_cmp_ne_u32_e64 s0, 31, v9
	s_delay_alu instid0(VALU_DEP_2) | instskip(SKIP_1) | instid1(VALU_DEP_2)
	v_add_lshl_u32 v8, v8, v9, 2
	s_wait_alu 0xf1ff
	v_add_co_ci_u32_e64 v9, null, 0, v9, s0
	s_wait_dscnt 0x0
	v_cmp_lt_f64_e32 vcc_lo, v[1:2], v[3:4]
	s_mov_b32 s0, exec_lo
	s_wait_alu 0xfffd
	v_dual_cndmask_b32 v2, v2, v4 :: v_dual_cndmask_b32 v1, v1, v3
	ds_bpermute_b32 v4, v6, v2
	ds_bpermute_b32 v3, v6, v1
	s_wait_dscnt 0x0
	v_cmp_lt_f64_e32 vcc_lo, v[1:2], v[3:4]
	s_wait_alu 0xfffd
	v_dual_cndmask_b32 v2, v2, v4 :: v_dual_cndmask_b32 v1, v1, v3
	ds_bpermute_b32 v4, v7, v2
	ds_bpermute_b32 v3, v7, v1
	s_wait_dscnt 0x0
	v_cmp_lt_f64_e32 vcc_lo, v[1:2], v[3:4]
	;; [unrolled: 6-line block ×3, first 2 shown]
	s_wait_alu 0xfffd
	v_dual_cndmask_b32 v2, v2, v4 :: v_dual_lshlrev_b32 v9, 2, v9
	v_cndmask_b32_e32 v1, v1, v3, vcc_lo
	ds_bpermute_b32 v11, v9, v2
	ds_bpermute_b32 v3, v9, v1
	v_cmpx_eq_u32_e32 0, v10
	s_cbranch_execz .LBB14_6
; %bb.5:
	s_wait_dscnt 0x1
	v_mov_b32_e32 v4, v11
	s_wait_dscnt 0x0
	s_delay_alu instid0(VALU_DEP_1)
	v_cmp_lt_f64_e32 vcc_lo, v[1:2], v[3:4]
	v_lshrrev_b32_e32 v4, 2, v0
	s_wait_alu 0xfffd
	v_cndmask_b32_e32 v2, v2, v11, vcc_lo
	v_cndmask_b32_e32 v1, v1, v3, vcc_lo
	ds_store_b64 v4, v[1:2]
.LBB14_6:
	s_wait_alu 0xfffe
	s_or_b32 exec_lo, exec_lo, s0
	s_and_b32 s0, 0xffff, s12
	v_mov_b32_e32 v1, 0
	s_wait_alu 0xfffe
	s_lshr_b32 s0, s0, 5
	v_mov_b32_e32 v2, 0
	s_wait_alu 0xfffe
	v_cmp_gt_u32_e32 vcc_lo, s0, v0
	s_wait_loadcnt_dscnt 0x0
	s_barrier_signal -1
	s_barrier_wait -1
	global_inv scope:SCOPE_SE
	s_and_saveexec_b32 s0, vcc_lo
; %bb.7:
	v_lshlrev_b32_e32 v1, 3, v10
	ds_load_b64 v[1:2], v1
; %bb.8:
	s_wait_alu 0xfffe
	s_or_b32 exec_lo, exec_lo, s0
	s_delay_alu instid0(SALU_CYCLE_1)
	s_mov_b32 s0, exec_lo
	v_cmpx_gt_u32_e32 32, v0
	s_cbranch_execz .LBB14_10
; %bb.9:
	s_wait_dscnt 0x0
	ds_bpermute_b32 v10, v5, v2
	ds_bpermute_b32 v3, v5, v1
	s_wait_dscnt 0x1
	v_mov_b32_e32 v4, v10
	s_wait_dscnt 0x0
	s_delay_alu instid0(VALU_DEP_1)
	v_cmp_lt_f64_e32 vcc_lo, v[1:2], v[3:4]
	s_wait_alu 0xfffd
	v_cndmask_b32_e32 v1, v1, v3, vcc_lo
	ds_bpermute_b32 v3, v6, v1
	v_cndmask_b32_e32 v2, v2, v10, vcc_lo
	ds_bpermute_b32 v5, v6, v2
	s_wait_dscnt 0x0
	v_mov_b32_e32 v4, v5
	s_delay_alu instid0(VALU_DEP_1)
	v_cmp_lt_f64_e32 vcc_lo, v[1:2], v[3:4]
	s_wait_alu 0xfffd
	v_cndmask_b32_e32 v1, v1, v3, vcc_lo
	ds_bpermute_b32 v3, v7, v1
	v_cndmask_b32_e32 v2, v2, v5, vcc_lo
	ds_bpermute_b32 v5, v7, v2
	s_wait_dscnt 0x0
	v_mov_b32_e32 v4, v5
	;; [unrolled: 9-line block ×4, first 2 shown]
	s_delay_alu instid0(VALU_DEP_1)
	v_cmp_lt_f64_e32 vcc_lo, v[1:2], v[3:4]
	s_wait_alu 0xfffd
	v_dual_cndmask_b32 v1, v1, v3 :: v_dual_cndmask_b32 v2, v2, v5
.LBB14_10:
	s_wait_alu 0xfffe
	s_or_b32 exec_lo, exec_lo, s0
	s_delay_alu instid0(SALU_CYCLE_1)
	s_mov_b32 s0, exec_lo
	v_cmpx_eq_u32_e32 0, v0
	s_cbranch_execz .LBB14_12
; %bb.11:
	v_mov_b32_e32 v0, 0
	s_lshl_b64 s[0:1], s[2:3], 3
	s_wait_alu 0xfffe
	s_add_nc_u64 s[0:1], s[4:5], s[0:1]
	s_wait_dscnt 0x0
	global_store_b64 v0, v[1:2], s[0:1]
.LBB14_12:
	s_endpgm
	.section	.rodata,"a",@progbits
	.p2align	6, 0x0
	.amdhsa_kernel _ZN2at6native12_GLOBAL__N_122pdist_kernel_cuda_implIdNS1_5distsIdE3infEEEvPT_PKS6_llS6_dd
		.amdhsa_group_segment_fixed_size 2048
		.amdhsa_private_segment_fixed_size 0
		.amdhsa_kernarg_size 312
		.amdhsa_user_sgpr_count 2
		.amdhsa_user_sgpr_dispatch_ptr 0
		.amdhsa_user_sgpr_queue_ptr 0
		.amdhsa_user_sgpr_kernarg_segment_ptr 1
		.amdhsa_user_sgpr_dispatch_id 0
		.amdhsa_user_sgpr_private_segment_size 0
		.amdhsa_wavefront_size32 1
		.amdhsa_uses_dynamic_stack 0
		.amdhsa_enable_private_segment 0
		.amdhsa_system_sgpr_workgroup_id_x 1
		.amdhsa_system_sgpr_workgroup_id_y 0
		.amdhsa_system_sgpr_workgroup_id_z 0
		.amdhsa_system_sgpr_workgroup_info 0
		.amdhsa_system_vgpr_workitem_id 0
		.amdhsa_next_free_vgpr 12
		.amdhsa_next_free_sgpr 26
		.amdhsa_reserve_vcc 1
		.amdhsa_float_round_mode_32 0
		.amdhsa_float_round_mode_16_64 0
		.amdhsa_float_denorm_mode_32 3
		.amdhsa_float_denorm_mode_16_64 3
		.amdhsa_fp16_overflow 0
		.amdhsa_workgroup_processor_mode 1
		.amdhsa_memory_ordered 1
		.amdhsa_forward_progress 1
		.amdhsa_inst_pref_size 12
		.amdhsa_round_robin_scheduling 0
		.amdhsa_exception_fp_ieee_invalid_op 0
		.amdhsa_exception_fp_denorm_src 0
		.amdhsa_exception_fp_ieee_div_zero 0
		.amdhsa_exception_fp_ieee_overflow 0
		.amdhsa_exception_fp_ieee_underflow 0
		.amdhsa_exception_fp_ieee_inexact 0
		.amdhsa_exception_int_div_zero 0
	.end_amdhsa_kernel
	.section	.text._ZN2at6native12_GLOBAL__N_122pdist_kernel_cuda_implIdNS1_5distsIdE3infEEEvPT_PKS6_llS6_dd,"axG",@progbits,_ZN2at6native12_GLOBAL__N_122pdist_kernel_cuda_implIdNS1_5distsIdE3infEEEvPT_PKS6_llS6_dd,comdat
.Lfunc_end14:
	.size	_ZN2at6native12_GLOBAL__N_122pdist_kernel_cuda_implIdNS1_5distsIdE3infEEEvPT_PKS6_llS6_dd, .Lfunc_end14-_ZN2at6native12_GLOBAL__N_122pdist_kernel_cuda_implIdNS1_5distsIdE3infEEEvPT_PKS6_llS6_dd
                                        ; -- End function
	.set _ZN2at6native12_GLOBAL__N_122pdist_kernel_cuda_implIdNS1_5distsIdE3infEEEvPT_PKS6_llS6_dd.num_vgpr, 12
	.set _ZN2at6native12_GLOBAL__N_122pdist_kernel_cuda_implIdNS1_5distsIdE3infEEEvPT_PKS6_llS6_dd.num_agpr, 0
	.set _ZN2at6native12_GLOBAL__N_122pdist_kernel_cuda_implIdNS1_5distsIdE3infEEEvPT_PKS6_llS6_dd.numbered_sgpr, 26
	.set _ZN2at6native12_GLOBAL__N_122pdist_kernel_cuda_implIdNS1_5distsIdE3infEEEvPT_PKS6_llS6_dd.num_named_barrier, 0
	.set _ZN2at6native12_GLOBAL__N_122pdist_kernel_cuda_implIdNS1_5distsIdE3infEEEvPT_PKS6_llS6_dd.private_seg_size, 0
	.set _ZN2at6native12_GLOBAL__N_122pdist_kernel_cuda_implIdNS1_5distsIdE3infEEEvPT_PKS6_llS6_dd.uses_vcc, 1
	.set _ZN2at6native12_GLOBAL__N_122pdist_kernel_cuda_implIdNS1_5distsIdE3infEEEvPT_PKS6_llS6_dd.uses_flat_scratch, 0
	.set _ZN2at6native12_GLOBAL__N_122pdist_kernel_cuda_implIdNS1_5distsIdE3infEEEvPT_PKS6_llS6_dd.has_dyn_sized_stack, 0
	.set _ZN2at6native12_GLOBAL__N_122pdist_kernel_cuda_implIdNS1_5distsIdE3infEEEvPT_PKS6_llS6_dd.has_recursion, 0
	.set _ZN2at6native12_GLOBAL__N_122pdist_kernel_cuda_implIdNS1_5distsIdE3infEEEvPT_PKS6_llS6_dd.has_indirect_call, 0
	.section	.AMDGPU.csdata,"",@progbits
; Kernel info:
; codeLenInByte = 1472
; TotalNumSgprs: 28
; NumVgprs: 12
; ScratchSize: 0
; MemoryBound: 0
; FloatMode: 240
; IeeeMode: 1
; LDSByteSize: 2048 bytes/workgroup (compile time only)
; SGPRBlocks: 0
; VGPRBlocks: 1
; NumSGPRsForWavesPerEU: 28
; NumVGPRsForWavesPerEU: 12
; Occupancy: 16
; WaveLimiterHint : 0
; COMPUTE_PGM_RSRC2:SCRATCH_EN: 0
; COMPUTE_PGM_RSRC2:USER_SGPR: 2
; COMPUTE_PGM_RSRC2:TRAP_HANDLER: 0
; COMPUTE_PGM_RSRC2:TGID_X_EN: 1
; COMPUTE_PGM_RSRC2:TGID_Y_EN: 0
; COMPUTE_PGM_RSRC2:TGID_Z_EN: 0
; COMPUTE_PGM_RSRC2:TIDIG_COMP_CNT: 0
	.section	.text._ZN2at6native12_GLOBAL__N_122pdist_kernel_cuda_implIfNS1_5distsIfE1pEEEvPT_PKS6_llS6_dd,"axG",@progbits,_ZN2at6native12_GLOBAL__N_122pdist_kernel_cuda_implIfNS1_5distsIfE1pEEEvPT_PKS6_llS6_dd,comdat
	.globl	_ZN2at6native12_GLOBAL__N_122pdist_kernel_cuda_implIfNS1_5distsIfE1pEEEvPT_PKS6_llS6_dd ; -- Begin function _ZN2at6native12_GLOBAL__N_122pdist_kernel_cuda_implIfNS1_5distsIfE1pEEEvPT_PKS6_llS6_dd
	.p2align	8
	.type	_ZN2at6native12_GLOBAL__N_122pdist_kernel_cuda_implIfNS1_5distsIfE1pEEEvPT_PKS6_llS6_dd,@function
_ZN2at6native12_GLOBAL__N_122pdist_kernel_cuda_implIfNS1_5distsIfE1pEEEvPT_PKS6_llS6_dd: ; @_ZN2at6native12_GLOBAL__N_122pdist_kernel_cuda_implIfNS1_5distsIfE1pEEEvPT_PKS6_llS6_dd
; %bb.0:
	s_clause 0x2
	s_load_b256 s[8:15], s[0:1], 0x0
	s_load_b32 s5, s[0:1], 0x20
	s_load_b32 s16, s[0:1], 0x44
	v_mov_b32_e32 v1, 0
	s_mov_b32 s6, ttmp9
	s_mov_b32 s7, 0
	s_mov_b32 s17, exec_lo
	s_wait_kmcnt 0x0
	v_cmpx_gt_i64_e64 s[14:15], v[0:1]
	s_cbranch_execz .LBB15_4
; %bb.1:
	s_lshl_b64 s[2:3], s[6:7], 1
	s_mov_b32 s18, 0x3e76c4e1
	v_cvt_f64_u32_e32 v[1:2], s3
	v_cvt_f64_u32_e32 v[3:4], s2
	s_load_b128 s[0:3], s[0:1], 0x28
	s_mov_b32 s21, s7
	s_delay_alu instid0(VALU_DEP_2) | instskip(NEXT) | instid1(VALU_DEP_1)
	v_ldexp_f64 v[1:2], v[1:2], 32
	v_add_f64_e32 v[1:2], v[1:2], v[3:4]
	s_wait_kmcnt 0x0
	s_delay_alu instid0(VALU_DEP_1) | instskip(NEXT) | instid1(VALU_DEP_1)
	v_add_f64_e64 v[1:2], s[2:3], -v[1:2]
	v_cmp_gt_f64_e32 vcc_lo, 0x10000000, v[1:2]
	s_and_b32 s2, vcc_lo, exec_lo
	s_cselect_b32 s2, 0x100, 0
	s_wait_alu 0xfffe
	v_ldexp_f64 v[1:2], v[1:2], s2
	s_cselect_b32 s2, 0xffffff80, 0
	s_lshl_b64 s[22:23], s[14:15], 2
	s_delay_alu instid0(VALU_DEP_1) | instskip(SKIP_1) | instid1(TRANS32_DEP_1)
	v_rsq_f64_e32 v[3:4], v[1:2]
	v_cmp_class_f64_e64 vcc_lo, v[1:2], 0x260
	v_mul_f64_e32 v[5:6], v[1:2], v[3:4]
	v_mul_f64_e32 v[3:4], 0.5, v[3:4]
	s_delay_alu instid0(VALU_DEP_1) | instskip(NEXT) | instid1(VALU_DEP_1)
	v_fma_f64 v[7:8], -v[3:4], v[5:6], 0.5
	v_fma_f64 v[5:6], v[5:6], v[7:8], v[5:6]
	v_fma_f64 v[3:4], v[3:4], v[7:8], v[3:4]
	s_delay_alu instid0(VALU_DEP_2) | instskip(NEXT) | instid1(VALU_DEP_1)
	v_fma_f64 v[7:8], -v[5:6], v[5:6], v[1:2]
	v_fma_f64 v[5:6], v[7:8], v[3:4], v[5:6]
	s_delay_alu instid0(VALU_DEP_1) | instskip(NEXT) | instid1(VALU_DEP_1)
	v_fma_f64 v[7:8], -v[5:6], v[5:6], v[1:2]
	v_fma_f64 v[3:4], v[7:8], v[3:4], v[5:6]
	v_lshlrev_b32_e32 v6, 2, v0
	s_wait_alu 0xfffe
	s_delay_alu instid0(VALU_DEP_2) | instskip(NEXT) | instid1(VALU_DEP_1)
	v_ldexp_f64 v[3:4], v[3:4], s2
	v_dual_cndmask_b32 v2, v4, v2 :: v_dual_cndmask_b32 v1, v3, v1
	s_delay_alu instid0(VALU_DEP_1) | instskip(SKIP_1) | instid1(VALU_DEP_1)
	v_add_f64_e64 v[1:2], s[0:1], -v[1:2]
	s_mov_b32 s1, s7
	v_trunc_f64_e32 v[1:2], v[1:2]
	s_delay_alu instid0(VALU_DEP_1) | instskip(NEXT) | instid1(VALU_DEP_1)
	v_ldexp_f64 v[3:4], v[1:2], 0xffffffe0
	v_floor_f64_e32 v[3:4], v[3:4]
	s_delay_alu instid0(VALU_DEP_1) | instskip(SKIP_1) | instid1(VALU_DEP_2)
	v_fma_f64 v[1:2], 0xc1f00000, v[3:4], v[1:2]
	v_cvt_i32_f64_e32 v3, v[3:4]
	v_cvt_u32_f64_e32 v2, v[1:2]
	s_delay_alu instid0(VALU_DEP_2)
	v_readfirstlane_b32 s3, v3
	v_mov_b32_e32 v1, 0
	v_add_co_u32 v4, s0, s10, v6
	s_wait_alu 0xf1ff
	v_add_co_ci_u32_e64 v5, null, s11, 0, s0
	s_and_b32 s0, s16, 0xffff
	s_wait_alu 0xfffe
	s_lshl_b32 s19, s0, 2
	s_lshl_b32 s20, s0, 2
	v_readfirstlane_b32 s2, v2
	s_add_nc_u64 s[26:27], s[2:3], 1
	s_mul_u64 s[24:25], s[14:15], s[2:3]
	s_mul_u64 s[28:29], s[12:13], s[2:3]
	;; [unrolled: 1-line block ×3, first 2 shown]
	s_lshl_b64 s[12:13], s[24:25], 2
	s_wait_alu 0xfffe
	s_lshr_b32 s0, s3, 31
	s_add_nc_u64 s[24:25], s[26:27], s[6:7]
	s_wait_alu 0xfffe
	s_add_nc_u64 s[0:1], s[2:3], s[0:1]
	s_sub_nc_u64 s[2:3], s[24:25], s[28:29]
	s_wait_alu 0xfffe
	s_lshr_b64 s[0:1], s[0:1], 1
	s_add_nc_u64 s[10:11], s[10:11], s[12:13]
	s_wait_alu 0xfffe
	s_add_nc_u64 s[0:1], s[2:3], s[0:1]
	v_add_co_u32 v2, s2, s10, v6
	s_wait_alu 0xf1ff
	v_add_co_ci_u32_e64 v3, null, s11, 0, s2
	s_wait_alu 0xfffe
	s_mul_u64 s[0:1], s[14:15], s[0:1]
	s_add_nc_u64 s[10:11], s[10:11], s[22:23]
	s_wait_alu 0xfffe
	s_lshl_b64 s[14:15], s[0:1], 2
.LBB15_2:                               ; =>This Inner Loop Header: Depth=1
	v_add_co_u32 v6, vcc_lo, v4, s12
	s_wait_alu 0xfffd
	v_add_co_ci_u32_e64 v7, null, s13, v5, vcc_lo
	s_wait_alu 0xfffe
	v_add_co_u32 v8, vcc_lo, v4, s14
	s_wait_alu 0xfffd
	v_add_co_ci_u32_e64 v9, null, s15, v5, vcc_lo
	s_clause 0x1
	global_load_b32 v6, v[6:7], off
	global_load_b32 v7, v[8:9], off
	v_add_co_u32 v2, vcc_lo, v2, s20
	s_wait_alu 0xfffd
	v_add_co_ci_u32_e64 v3, null, 0, v3, vcc_lo
	s_delay_alu instid0(VALU_DEP_1) | instskip(SKIP_2) | instid1(VALU_DEP_1)
	v_cmp_le_u64_e32 vcc_lo, s[10:11], v[2:3]
	s_wait_loadcnt 0x0
	v_sub_f32_e32 v6, v6, v7
	v_cmp_neq_f32_e64 s0, |v6|, 1.0
	s_wait_alu 0xf1ff
	s_delay_alu instid0(VALU_DEP_1) | instskip(NEXT) | instid1(VALU_DEP_1)
	v_cndmask_b32_e64 v8, 1.0, s5, s0
	v_cmp_neq_f32_e64 s0, 0, v8
	v_cmp_neq_f32_e64 s22, v8, |v8|
	s_wait_alu 0xf1ff
	s_delay_alu instid0(VALU_DEP_2) | instskip(SKIP_1) | instid1(VALU_DEP_2)
	v_cndmask_b32_e64 v9, 1.0, |v6|, s0
	v_cmp_gt_f32_e64 s0, 0, v8
	v_cvt_f64_f32_e32 v[6:7], v9
	v_frexp_mant_f32_e32 v10, v9
	v_cmp_gt_f32_e64 s1, 1.0, v9
	v_cmp_eq_f32_e64 s3, 0, v9
	v_cmp_eq_f32_e64 s2, 0x7f800000, v9
	s_delay_alu instid0(VALU_DEP_4)
	v_cmp_gt_f32_e64 s4, 0x3f2aaaab, v10
	s_xor_b32 s1, s22, s1
	s_xor_b32 s0, s0, s3
	s_wait_alu 0xfffe
	v_cndmask_b32_e64 v12, 0x7f800000, 0, s1
	v_cmp_neq_f32_e64 s1, 1.0, v9
	v_cndmask_b32_e64 v11, 1.0, 2.0, s4
	v_cndmask_b32_e64 v13, 0x7f800000, 0, s0
	s_delay_alu instid0(VALU_DEP_2) | instskip(SKIP_2) | instid1(VALU_DEP_2)
	v_mul_f32_e32 v10, v10, v11
	s_wait_alu 0xf1ff
	v_cndmask_b32_e64 v11, 1.0, v12, s1
	v_add_f32_e32 v12, 1.0, v10
	v_add_f32_e32 v14, -1.0, v10
	s_delay_alu instid0(VALU_DEP_2) | instskip(SKIP_1) | instid1(VALU_DEP_1)
	v_rcp_f32_e32 v15, v12
	v_add_f32_e32 v16, -1.0, v12
	v_sub_f32_e32 v10, v10, v16
	v_frexp_exp_i32_f64_e32 v6, v[6:7]
	s_delay_alu instid0(VALU_DEP_1) | instskip(NEXT) | instid1(VALU_DEP_1)
	v_subrev_co_ci_u32_e64 v6, null, 0, v6, s4
	v_cvt_f32_i32_e32 v6, v6
	s_delay_alu instid0(TRANS32_DEP_1) | instskip(NEXT) | instid1(VALU_DEP_1)
	v_mul_f32_e32 v16, v14, v15
	v_mul_f32_e32 v17, v12, v16
	s_delay_alu instid0(VALU_DEP_1) | instskip(NEXT) | instid1(VALU_DEP_1)
	v_fma_f32 v7, v16, v12, -v17
	v_fmac_f32_e32 v7, v16, v10
	s_delay_alu instid0(VALU_DEP_1) | instskip(NEXT) | instid1(VALU_DEP_1)
	v_add_f32_e32 v10, v17, v7
	v_sub_f32_e32 v17, v10, v17
	s_delay_alu instid0(VALU_DEP_1) | instskip(NEXT) | instid1(VALU_DEP_1)
	v_dual_sub_f32 v7, v17, v7 :: v_dual_sub_f32 v12, v14, v10
	v_sub_f32_e32 v14, v14, v12
	s_delay_alu instid0(VALU_DEP_1) | instskip(NEXT) | instid1(VALU_DEP_1)
	v_sub_f32_e32 v10, v14, v10
	v_add_f32_e32 v7, v7, v10
	s_delay_alu instid0(VALU_DEP_1) | instskip(NEXT) | instid1(VALU_DEP_1)
	v_dual_add_f32 v7, v12, v7 :: v_dual_mul_f32 v12, 0x3f317218, v6
	v_mul_f32_e32 v7, v15, v7
	s_delay_alu instid0(VALU_DEP_2) | instskip(NEXT) | instid1(VALU_DEP_1)
	v_fma_f32 v17, 0x3f317218, v6, -v12
	v_dual_fmac_f32 v17, 0xb102e308, v6 :: v_dual_add_f32 v10, v16, v7
	s_delay_alu instid0(VALU_DEP_1) | instskip(NEXT) | instid1(VALU_DEP_2)
	v_add_f32_e32 v19, v12, v17
	v_mul_f32_e32 v15, v10, v10
	v_sub_f32_e32 v14, v10, v16
	s_delay_alu instid0(VALU_DEP_1) | instskip(NEXT) | instid1(VALU_DEP_1)
	v_sub_f32_e32 v7, v7, v14
	v_add_f32_e32 v6, v7, v7
	s_delay_alu instid0(VALU_DEP_4) | instskip(SKIP_1) | instid1(VALU_DEP_2)
	v_fma_f32 v14, v10, v10, -v15
	v_ldexp_f32 v18, v7, 1
	v_fmac_f32_e32 v14, v10, v6
	v_sub_f32_e32 v6, v19, v12
	s_delay_alu instid0(VALU_DEP_2) | instskip(NEXT) | instid1(VALU_DEP_1)
	v_add_f32_e32 v12, v15, v14
	v_dual_sub_f32 v6, v17, v6 :: v_dual_fmaak_f32 v17, s18, v12, 0x3e91f4c4
	v_sub_f32_e32 v15, v12, v15
	s_delay_alu instid0(VALU_DEP_1) | instskip(NEXT) | instid1(VALU_DEP_1)
	v_dual_fmaak_f32 v17, v12, v17, 0x3ecccdef :: v_dual_sub_f32 v14, v14, v15
	v_dual_mul_f32 v21, v12, v17 :: v_dual_mul_f32 v20, v10, v12
	s_delay_alu instid0(VALU_DEP_1) | instskip(NEXT) | instid1(VALU_DEP_1)
	v_fma_f32 v15, v12, v10, -v20
	v_fmac_f32_e32 v15, v12, v7
	s_delay_alu instid0(VALU_DEP_3) | instskip(NEXT) | instid1(VALU_DEP_1)
	v_fma_f32 v7, v12, v17, -v21
	v_fmac_f32_e32 v7, v14, v17
	s_delay_alu instid0(VALU_DEP_3) | instskip(SKIP_1) | instid1(VALU_DEP_3)
	v_fmac_f32_e32 v15, v14, v10
	v_ldexp_f32 v16, v10, 1
	v_add_f32_e32 v12, v21, v7
	s_delay_alu instid0(VALU_DEP_1) | instskip(NEXT) | instid1(VALU_DEP_1)
	v_sub_f32_e32 v17, v12, v21
	v_dual_add_f32 v10, v20, v15 :: v_dual_sub_f32 v7, v7, v17
	s_delay_alu instid0(VALU_DEP_1) | instskip(SKIP_1) | instid1(VALU_DEP_2)
	v_sub_f32_e32 v14, v10, v20
	v_add_f32_e32 v20, 0x3f2aaaaa, v12
	v_dual_add_f32 v7, 0x31739010, v7 :: v_dual_sub_f32 v14, v15, v14
	s_delay_alu instid0(VALU_DEP_2) | instskip(NEXT) | instid1(VALU_DEP_1)
	v_add_f32_e32 v15, 0xbf2aaaaa, v20
	v_sub_f32_e32 v12, v12, v15
	s_delay_alu instid0(VALU_DEP_1) | instskip(NEXT) | instid1(VALU_DEP_1)
	v_add_f32_e32 v7, v7, v12
	v_add_f32_e32 v12, v20, v7
	s_delay_alu instid0(VALU_DEP_1) | instskip(SKIP_1) | instid1(VALU_DEP_2)
	v_sub_f32_e32 v15, v20, v12
	v_mul_f32_e32 v17, v10, v12
	v_add_f32_e32 v7, v7, v15
	s_delay_alu instid0(VALU_DEP_2) | instskip(NEXT) | instid1(VALU_DEP_1)
	v_fma_f32 v15, v10, v12, -v17
	v_fmac_f32_e32 v15, v10, v7
	s_delay_alu instid0(VALU_DEP_1) | instskip(NEXT) | instid1(VALU_DEP_1)
	v_fmac_f32_e32 v15, v14, v12
	v_add_f32_e32 v7, v17, v15
	s_delay_alu instid0(VALU_DEP_1) | instskip(NEXT) | instid1(VALU_DEP_1)
	v_add_f32_e32 v10, v16, v7
	v_sub_f32_e32 v14, v10, v16
	v_sub_f32_e32 v12, v7, v17
	s_delay_alu instid0(VALU_DEP_2) | instskip(NEXT) | instid1(VALU_DEP_2)
	v_sub_f32_e32 v7, v7, v14
	v_sub_f32_e32 v12, v15, v12
	s_delay_alu instid0(VALU_DEP_1) | instskip(NEXT) | instid1(VALU_DEP_1)
	v_add_f32_e32 v12, v18, v12
	v_add_f32_e32 v7, v12, v7
	s_delay_alu instid0(VALU_DEP_1) | instskip(NEXT) | instid1(VALU_DEP_1)
	v_add_f32_e32 v12, v10, v7
	v_add_f32_e32 v14, v19, v12
	s_delay_alu instid0(VALU_DEP_1) | instskip(NEXT) | instid1(VALU_DEP_1)
	v_dual_sub_f32 v10, v12, v10 :: v_dual_sub_f32 v15, v14, v19
	v_dual_sub_f32 v7, v7, v10 :: v_dual_sub_f32 v10, v14, v15
	s_delay_alu instid0(VALU_DEP_1) | instskip(SKIP_1) | instid1(VALU_DEP_3)
	v_add_f32_e32 v16, v6, v7
	v_sub_f32_e32 v12, v12, v15
	v_sub_f32_e32 v10, v19, v10
	s_delay_alu instid0(VALU_DEP_3) | instskip(NEXT) | instid1(VALU_DEP_2)
	v_sub_f32_e32 v15, v16, v6
	v_add_f32_e32 v10, v12, v10
	s_delay_alu instid0(VALU_DEP_2) | instskip(NEXT) | instid1(VALU_DEP_2)
	v_sub_f32_e32 v12, v16, v15
	v_dual_sub_f32 v7, v7, v15 :: v_dual_add_f32 v10, v16, v10
	s_delay_alu instid0(VALU_DEP_2) | instskip(NEXT) | instid1(VALU_DEP_2)
	v_sub_f32_e32 v6, v6, v12
	v_add_f32_e32 v12, v14, v10
	s_delay_alu instid0(VALU_DEP_2) | instskip(NEXT) | instid1(VALU_DEP_2)
	v_add_f32_e32 v6, v7, v6
	v_sub_f32_e32 v7, v12, v14
	s_delay_alu instid0(VALU_DEP_1) | instskip(NEXT) | instid1(VALU_DEP_1)
	v_sub_f32_e32 v7, v10, v7
	v_add_f32_e32 v6, v6, v7
	s_delay_alu instid0(VALU_DEP_1) | instskip(NEXT) | instid1(VALU_DEP_1)
	v_add_f32_e32 v7, v12, v6
	v_sub_f32_e32 v10, v7, v12
	v_mul_f32_e32 v12, v8, v7
	s_delay_alu instid0(VALU_DEP_2) | instskip(NEXT) | instid1(VALU_DEP_2)
	v_sub_f32_e32 v6, v6, v10
	v_fma_f32 v7, v8, v7, -v12
	v_cmp_class_f32_e64 s0, v12, 0x204
	s_delay_alu instid0(VALU_DEP_2) | instskip(NEXT) | instid1(VALU_DEP_1)
	v_fmac_f32_e32 v7, v8, v6
	v_add_f32_e32 v6, v12, v7
	s_wait_alu 0xf1ff
	s_delay_alu instid0(VALU_DEP_1) | instskip(SKIP_1) | instid1(VALU_DEP_2)
	v_cndmask_b32_e64 v10, v6, v12, s0
	v_sub_f32_e32 v6, v6, v12
	v_cmp_eq_f32_e64 s0, 0x42b17218, v10
	s_delay_alu instid0(VALU_DEP_2) | instskip(SKIP_1) | instid1(VALU_DEP_2)
	v_sub_f32_e32 v6, v7, v6
	s_wait_alu 0xf1ff
	v_cndmask_b32_e64 v12, 0, 0x37000000, s0
	v_cmp_neq_f32_e64 s0, 0x7f800000, |v10|
	s_delay_alu instid0(VALU_DEP_2) | instskip(SKIP_1) | instid1(VALU_DEP_2)
	v_sub_f32_e32 v7, v10, v12
	s_wait_alu 0xf1ff
	v_cndmask_b32_e64 v6, 0, v6, s0
	s_delay_alu instid0(VALU_DEP_2) | instskip(NEXT) | instid1(VALU_DEP_2)
	v_mul_f32_e32 v10, 0x3fb8aa3b, v7
	v_add_f32_e32 v6, v12, v6
	v_cmp_ngt_f32_e64 s0, 0xc2ce8ed0, v7
	s_delay_alu instid0(VALU_DEP_3) | instskip(SKIP_1) | instid1(VALU_DEP_2)
	v_fma_f32 v12, 0x3fb8aa3b, v7, -v10
	v_rndne_f32_e32 v14, v10
	v_fmac_f32_e32 v12, 0x32a5705f, v7
	s_delay_alu instid0(VALU_DEP_2) | instskip(NEXT) | instid1(VALU_DEP_1)
	v_sub_f32_e32 v10, v10, v14
	v_add_f32_e32 v10, v10, v12
	v_cvt_i32_f32_e32 v12, v14
	s_delay_alu instid0(VALU_DEP_2) | instskip(NEXT) | instid1(TRANS32_DEP_1)
	v_exp_f32_e32 v10, v10
	v_ldexp_f32 v10, v10, v12
	s_wait_alu 0xf1ff
	s_delay_alu instid0(VALU_DEP_1) | instskip(SKIP_2) | instid1(VALU_DEP_1)
	v_cndmask_b32_e64 v10, 0, v10, s0
	v_cmp_nlt_f32_e64 s0, 0x42b17218, v7
	s_wait_alu 0xf1ff
	v_cndmask_b32_e64 v7, 0x7f800000, v10, s0
	s_delay_alu instid0(VALU_DEP_1) | instskip(SKIP_2) | instid1(VALU_DEP_1)
	v_fma_f32 v6, v7, v6, v7
	v_cmp_class_f32_e64 s0, v7, 0x204
	s_wait_alu 0xf1ff
	v_cndmask_b32_e64 v6, v6, v7, s0
	v_cmp_class_f32_e64 s0, v8, 0x204
	s_wait_alu 0xf1ff
	s_delay_alu instid0(VALU_DEP_1) | instskip(SKIP_3) | instid1(VALU_DEP_1)
	v_cndmask_b32_e64 v6, |v6|, v11, s0
	s_or_b32 s0, s3, s2
	s_or_b32 s21, vcc_lo, s21
	s_wait_alu 0xfffe
	v_cndmask_b32_e64 v6, v6, v13, s0
	v_cmp_o_f32_e64 s0, v9, v8
	s_wait_alu 0xf1ff
	s_delay_alu instid0(VALU_DEP_1) | instskip(SKIP_3) | instid1(VALU_DEP_3)
	v_cndmask_b32_e64 v6, 0x7fc00000, v6, s0
	v_add_co_u32 v4, s0, v4, s19
	s_wait_alu 0xf1ff
	v_add_co_ci_u32_e64 v5, null, 0, v5, s0
	v_add_f32_e32 v1, v1, v6
	s_and_not1_b32 exec_lo, exec_lo, s21
	s_cbranch_execnz .LBB15_2
; %bb.3:
	s_or_b32 exec_lo, exec_lo, s21
.LBB15_4:
	s_delay_alu instid0(SALU_CYCLE_1) | instskip(SKIP_4) | instid1(VALU_DEP_1)
	s_or_b32 exec_lo, exec_lo, s17
	v_mbcnt_lo_u32_b32 v5, -1, 0
	s_mov_b32 s0, exec_lo
	s_barrier_signal -1
	s_barrier_wait -1
	v_lshl_or_b32 v2, v5, 2, 64
	v_cmp_gt_u32_e32 vcc_lo, 24, v5
	global_inv scope:SCOPE_SE
	ds_bpermute_b32 v4, v2, v1
	s_wait_alu 0xfffd
	v_cndmask_b32_e64 v3, 0, 8, vcc_lo
	v_cmp_gt_u32_e32 vcc_lo, 28, v5
	s_delay_alu instid0(VALU_DEP_2)
	v_add_lshl_u32 v3, v3, v5, 2
	s_wait_dscnt 0x0
	v_add_f32_e32 v4, v1, v4
	s_wait_alu 0xfffd
	v_cndmask_b32_e64 v1, 0, 4, vcc_lo
	v_cmp_gt_u32_e32 vcc_lo, 30, v5
	ds_bpermute_b32 v6, v3, v4
	v_add_lshl_u32 v1, v1, v5, 2
	s_wait_dscnt 0x0
	v_add_f32_e32 v6, v4, v6
	s_wait_alu 0xfffd
	v_cndmask_b32_e64 v4, 0, 2, vcc_lo
	v_cmp_ne_u32_e32 vcc_lo, 31, v5
	ds_bpermute_b32 v7, v1, v6
	v_add_lshl_u32 v4, v4, v5, 2
	s_wait_alu 0xfffd
	v_add_co_ci_u32_e64 v5, null, 0, v5, vcc_lo
	s_wait_dscnt 0x0
	s_delay_alu instid0(VALU_DEP_1)
	v_dual_add_f32 v6, v6, v7 :: v_dual_lshlrev_b32 v5, 2, v5
	ds_bpermute_b32 v7, v4, v6
	s_wait_dscnt 0x0
	v_dual_add_f32 v6, v6, v7 :: v_dual_and_b32 v7, 31, v0
	ds_bpermute_b32 v8, v5, v6
	v_cmpx_eq_u32_e32 0, v7
	s_cbranch_execz .LBB15_6
; %bb.5:
	s_wait_dscnt 0x0
	v_add_f32_e32 v6, v6, v8
	v_lshrrev_b32_e32 v8, 3, v0
	ds_store_b32 v8, v6
.LBB15_6:
	s_wait_alu 0xfffe
	s_or_b32 exec_lo, exec_lo, s0
	s_and_b32 s0, 0xffff, s16
	v_mov_b32_e32 v6, 0
	s_wait_alu 0xfffe
	s_lshr_b32 s0, s0, 5
	s_wait_loadcnt_dscnt 0x0
	s_wait_alu 0xfffe
	v_cmp_gt_u32_e32 vcc_lo, s0, v0
	s_barrier_signal -1
	s_barrier_wait -1
	global_inv scope:SCOPE_SE
	s_and_saveexec_b32 s0, vcc_lo
; %bb.7:
	v_lshlrev_b32_e32 v6, 2, v7
	ds_load_b32 v6, v6
; %bb.8:
	s_wait_alu 0xfffe
	s_or_b32 exec_lo, exec_lo, s0
	s_delay_alu instid0(SALU_CYCLE_1)
	s_mov_b32 s0, exec_lo
	v_cmpx_gt_u32_e32 32, v0
	s_cbranch_execz .LBB15_10
; %bb.9:
	s_wait_dscnt 0x0
	ds_bpermute_b32 v2, v2, v6
	s_wait_dscnt 0x0
	v_add_f32_e32 v2, v6, v2
	ds_bpermute_b32 v3, v3, v2
	s_wait_dscnt 0x0
	v_add_f32_e32 v2, v2, v3
	;; [unrolled: 3-line block ×5, first 2 shown]
.LBB15_10:
	s_wait_alu 0xfffe
	s_or_b32 exec_lo, exec_lo, s0
	s_delay_alu instid0(SALU_CYCLE_1)
	s_mov_b32 s0, exec_lo
	v_cmpx_eq_u32_e32 0, v0
	s_cbranch_execz .LBB15_12
; %bb.11:
	v_div_scale_f32 v0, null, s5, s5, 1.0
	v_div_scale_f32 v3, vcc_lo, 1.0, s5, 1.0
	s_mov_b32 s0, 0x3e76c4e1
	v_rcp_f32_e32 v1, v0
	v_xor_b32_e32 v0, 0x80000000, v0
	s_delay_alu instid0(TRANS32_DEP_1) | instid1(VALU_DEP_1)
	v_fma_f32 v2, v0, v1, 1.0
	s_delay_alu instid0(VALU_DEP_1) | instskip(NEXT) | instid1(VALU_DEP_1)
	v_fmac_f32_e32 v1, v2, v1
	v_mul_f32_e32 v2, v3, v1
	s_delay_alu instid0(VALU_DEP_1) | instskip(NEXT) | instid1(VALU_DEP_1)
	v_fma_f32 v4, v0, v2, v3
	v_fmac_f32_e32 v2, v4, v1
	s_delay_alu instid0(VALU_DEP_1) | instskip(SKIP_1) | instid1(VALU_DEP_1)
	v_fmac_f32_e32 v3, v0, v2
	s_wait_alu 0xfffd
	v_div_fmas_f32 v0, v3, v1, v2
	s_wait_dscnt 0x0
	v_cmp_neq_f32_e32 vcc_lo, 1.0, v6
	s_delay_alu instid0(VALU_DEP_2) | instskip(SKIP_1) | instid1(VALU_DEP_1)
	v_div_fixup_f32 v0, v0, s5, 1.0
	s_wait_alu 0xfffd
	v_cndmask_b32_e32 v2, 1.0, v0, vcc_lo
	s_delay_alu instid0(VALU_DEP_1) | instskip(SKIP_3) | instid1(VALU_DEP_1)
	v_cmp_neq_f32_e32 vcc_lo, 0, v2
	v_cmp_neq_f32_e64 s3, v2, |v2|
	s_wait_alu 0xfffd
	v_cndmask_b32_e32 v3, 1.0, v6, vcc_lo
	v_frexp_mant_f32_e64 v0, |v3|
	v_cmp_lt_f32_e64 s4, |v3|, 1.0
	v_cmp_eq_f32_e64 s2, 0, v3
	s_delay_alu instid0(VALU_DEP_3) | instskip(SKIP_3) | instid1(VALU_DEP_1)
	v_cmp_gt_f32_e32 vcc_lo, 0x3f2aaaab, v0
	s_xor_b32 s3, s3, s4
	s_wait_alu 0xfffd
	v_cndmask_b32_e64 v1, 1.0, 2.0, vcc_lo
	v_mul_f32_e32 v0, v0, v1
	s_delay_alu instid0(VALU_DEP_1) | instskip(SKIP_1) | instid1(VALU_DEP_2)
	v_add_f32_e32 v1, 1.0, v0
	v_add_f32_e32 v5, -1.0, v0
	v_rcp_f32_e32 v4, v1
	s_delay_alu instid0(TRANS32_DEP_1) | instskip(NEXT) | instid1(VALU_DEP_1)
	v_mul_f32_e32 v6, v5, v4
	v_dual_mul_f32 v8, v1, v6 :: v_dual_add_f32 v7, -1.0, v1
	s_delay_alu instid0(VALU_DEP_1) | instskip(NEXT) | instid1(VALU_DEP_2)
	v_fma_f32 v1, v6, v1, -v8
	v_sub_f32_e32 v0, v0, v7
	s_delay_alu instid0(VALU_DEP_1) | instskip(NEXT) | instid1(VALU_DEP_1)
	v_fmac_f32_e32 v1, v6, v0
	v_add_f32_e32 v0, v8, v1
	s_delay_alu instid0(VALU_DEP_1) | instskip(NEXT) | instid1(VALU_DEP_1)
	v_sub_f32_e32 v7, v5, v0
	v_dual_sub_f32 v8, v0, v8 :: v_dual_sub_f32 v5, v5, v7
	s_delay_alu instid0(VALU_DEP_1) | instskip(NEXT) | instid1(VALU_DEP_1)
	v_dual_sub_f32 v1, v8, v1 :: v_dual_sub_f32 v0, v5, v0
	v_add_f32_e32 v0, v1, v0
	s_delay_alu instid0(VALU_DEP_1) | instskip(NEXT) | instid1(VALU_DEP_1)
	v_add_f32_e32 v0, v7, v0
	v_mul_f32_e32 v0, v4, v0
	s_delay_alu instid0(VALU_DEP_1) | instskip(NEXT) | instid1(VALU_DEP_1)
	v_add_f32_e32 v4, v6, v0
	v_sub_f32_e32 v1, v4, v6
	s_delay_alu instid0(VALU_DEP_1) | instskip(NEXT) | instid1(VALU_DEP_1)
	v_sub_f32_e32 v6, v0, v1
	v_dual_mul_f32 v5, v4, v4 :: v_dual_add_f32 v0, v6, v6
	s_delay_alu instid0(VALU_DEP_1) | instskip(NEXT) | instid1(VALU_DEP_1)
	v_fma_f32 v7, v4, v4, -v5
	v_fmac_f32_e32 v7, v4, v0
	v_cvt_f64_f32_e64 v[0:1], |v3|
	s_delay_alu instid0(VALU_DEP_2) | instskip(SKIP_1) | instid1(VALU_DEP_1)
	v_add_f32_e32 v8, v5, v7
	s_wait_alu 0xfffe
	v_fmaak_f32 v9, s0, v8, 0x3e91f4c4
	v_sub_f32_e32 v5, v8, v5
	v_mul_f32_e32 v12, v4, v8
	s_delay_alu instid0(VALU_DEP_3) | instskip(NEXT) | instid1(VALU_DEP_3)
	v_fmaak_f32 v9, v8, v9, 0x3ecccdef
	v_sub_f32_e32 v5, v7, v5
	s_delay_alu instid0(VALU_DEP_2) | instskip(NEXT) | instid1(VALU_DEP_1)
	v_mul_f32_e32 v10, v8, v9
	v_fma_f32 v7, v8, v9, -v10
	s_delay_alu instid0(VALU_DEP_1) | instskip(NEXT) | instid1(VALU_DEP_1)
	v_fmac_f32_e32 v7, v5, v9
	v_add_f32_e32 v9, v10, v7
	v_frexp_exp_i32_f64_e32 v0, v[0:1]
	s_delay_alu instid0(VALU_DEP_2) | instskip(NEXT) | instid1(VALU_DEP_1)
	v_sub_f32_e32 v10, v9, v10
	v_sub_f32_e32 v1, v7, v10
	v_fma_f32 v10, v8, v4, -v12
	s_delay_alu instid0(VALU_DEP_1) | instskip(NEXT) | instid1(VALU_DEP_1)
	v_dual_add_f32 v11, 0x3f2aaaaa, v9 :: v_dual_fmac_f32 v10, v8, v6
	v_add_f32_e32 v7, 0xbf2aaaaa, v11
	v_ldexp_f32 v6, v6, 1
	s_delay_alu instid0(VALU_DEP_3) | instskip(NEXT) | instid1(VALU_DEP_3)
	v_dual_fmac_f32 v10, v5, v4 :: v_dual_add_f32 v1, 0x31739010, v1
	v_sub_f32_e32 v7, v9, v7
	s_delay_alu instid0(VALU_DEP_1) | instskip(NEXT) | instid1(VALU_DEP_3)
	v_add_f32_e32 v1, v1, v7
	v_add_f32_e32 v7, v12, v10
	s_delay_alu instid0(VALU_DEP_2) | instskip(NEXT) | instid1(VALU_DEP_1)
	v_add_f32_e32 v5, v11, v1
	v_sub_f32_e32 v8, v11, v5
	s_delay_alu instid0(VALU_DEP_3) | instskip(SKIP_1) | instid1(VALU_DEP_3)
	v_mul_f32_e32 v9, v7, v5
	v_subrev_co_ci_u32_e64 v0, null, 0, v0, vcc_lo
	v_add_f32_e32 v1, v1, v8
	s_delay_alu instid0(VALU_DEP_3) | instskip(NEXT) | instid1(VALU_DEP_3)
	v_fma_f32 v8, v7, v5, -v9
	v_cvt_f32_i32_e32 v0, v0
	v_sub_f32_e32 v11, v7, v12
	s_delay_alu instid0(VALU_DEP_3) | instskip(SKIP_1) | instid1(VALU_DEP_3)
	v_fmac_f32_e32 v8, v7, v1
	v_ldexp_f32 v1, v4, 1
	v_sub_f32_e32 v10, v10, v11
	s_delay_alu instid0(VALU_DEP_1) | instskip(NEXT) | instid1(VALU_DEP_1)
	v_fmac_f32_e32 v8, v10, v5
	v_add_f32_e32 v4, v9, v8
	s_delay_alu instid0(VALU_DEP_1) | instskip(SKIP_1) | instid1(VALU_DEP_2)
	v_add_f32_e32 v5, v1, v4
	v_sub_f32_e32 v7, v4, v9
	v_sub_f32_e32 v1, v5, v1
	s_delay_alu instid0(VALU_DEP_2) | instskip(NEXT) | instid1(VALU_DEP_1)
	v_sub_f32_e32 v7, v8, v7
	v_dual_sub_f32 v1, v4, v1 :: v_dual_add_f32 v4, v6, v7
	s_delay_alu instid0(VALU_DEP_1) | instskip(NEXT) | instid1(VALU_DEP_1)
	v_add_f32_e32 v1, v4, v1
	v_dual_mul_f32 v9, 0x3f317218, v0 :: v_dual_add_f32 v6, v5, v1
	s_delay_alu instid0(VALU_DEP_1) | instskip(NEXT) | instid1(VALU_DEP_1)
	v_fma_f32 v8, 0x3f317218, v0, -v9
	v_fmamk_f32 v0, v0, 0xb102e308, v8
	s_delay_alu instid0(VALU_DEP_1) | instskip(NEXT) | instid1(VALU_DEP_1)
	v_add_f32_e32 v4, v9, v0
	v_add_f32_e32 v7, v4, v6
	s_delay_alu instid0(VALU_DEP_1) | instskip(NEXT) | instid1(VALU_DEP_1)
	v_dual_sub_f32 v9, v4, v9 :: v_dual_sub_f32 v8, v7, v4
	v_sub_f32_e32 v0, v0, v9
	s_delay_alu instid0(VALU_DEP_2) | instskip(NEXT) | instid1(VALU_DEP_1)
	v_dual_sub_f32 v10, v7, v8 :: v_dual_sub_f32 v5, v6, v5
	v_dual_sub_f32 v4, v4, v10 :: v_dual_sub_f32 v1, v1, v5
	s_delay_alu instid0(VALU_DEP_1) | instskip(NEXT) | instid1(VALU_DEP_1)
	v_dual_sub_f32 v5, v6, v8 :: v_dual_add_f32 v6, v0, v1
	v_add_f32_e32 v4, v5, v4
	s_delay_alu instid0(VALU_DEP_2) | instskip(NEXT) | instid1(VALU_DEP_2)
	v_sub_f32_e32 v5, v6, v0
	v_add_f32_e32 v4, v6, v4
	s_delay_alu instid0(VALU_DEP_2) | instskip(NEXT) | instid1(VALU_DEP_2)
	v_sub_f32_e32 v6, v6, v5
	v_add_f32_e32 v8, v7, v4
	s_delay_alu instid0(VALU_DEP_2) | instskip(NEXT) | instid1(VALU_DEP_1)
	v_dual_sub_f32 v0, v0, v6 :: v_dual_sub_f32 v1, v1, v5
	v_dual_sub_f32 v5, v8, v7 :: v_dual_add_f32 v0, v1, v0
	s_delay_alu instid0(VALU_DEP_1) | instskip(NEXT) | instid1(VALU_DEP_1)
	v_sub_f32_e32 v1, v4, v5
	v_add_f32_e32 v0, v0, v1
	s_delay_alu instid0(VALU_DEP_1) | instskip(NEXT) | instid1(VALU_DEP_1)
	v_add_f32_e32 v1, v8, v0
	v_dual_sub_f32 v4, v1, v8 :: v_dual_mul_f32 v5, v2, v1
	s_delay_alu instid0(VALU_DEP_1) | instskip(NEXT) | instid1(VALU_DEP_2)
	v_sub_f32_e32 v0, v0, v4
	v_fma_f32 v1, v2, v1, -v5
	v_cmp_class_f32_e64 vcc_lo, v5, 0x204
	s_delay_alu instid0(VALU_DEP_2) | instskip(NEXT) | instid1(VALU_DEP_1)
	v_fmac_f32_e32 v1, v2, v0
	v_add_f32_e32 v0, v5, v1
	s_wait_alu 0xfffd
	s_delay_alu instid0(VALU_DEP_1) | instskip(NEXT) | instid1(VALU_DEP_1)
	v_cndmask_b32_e32 v4, v0, v5, vcc_lo
	v_cmp_eq_f32_e32 vcc_lo, 0x42b17218, v4
	s_wait_alu 0xfffd
	v_cndmask_b32_e64 v6, 0, 0x37000000, vcc_lo
	v_cmp_neq_f32_e64 vcc_lo, 0x7f800000, |v4|
	s_delay_alu instid0(VALU_DEP_2) | instskip(SKIP_1) | instid1(VALU_DEP_2)
	v_sub_f32_e32 v7, v4, v6
	v_trunc_f32_e32 v4, v2
	v_mul_f32_e32 v8, 0x3fb8aa3b, v7
	s_delay_alu instid0(VALU_DEP_1) | instskip(SKIP_1) | instid1(VALU_DEP_1)
	v_fma_f32 v9, 0x3fb8aa3b, v7, -v8
	v_rndne_f32_e32 v10, v8
	v_dual_sub_f32 v8, v8, v10 :: v_dual_fmamk_f32 v9, v7, 0x32a5705f, v9
	v_sub_f32_e32 v0, v0, v5
	v_cvt_i32_f32_e32 v5, v10
	s_delay_alu instid0(VALU_DEP_3) | instskip(NEXT) | instid1(VALU_DEP_3)
	v_add_f32_e32 v8, v8, v9
	v_sub_f32_e32 v0, v1, v0
	s_delay_alu instid0(VALU_DEP_2) | instskip(SKIP_1) | instid1(VALU_DEP_1)
	v_exp_f32_e32 v8, v8
	s_wait_alu 0xfffd
	v_cndmask_b32_e32 v0, 0, v0, vcc_lo
	v_cmp_ngt_f32_e32 vcc_lo, 0xc2ce8ed0, v7
	s_delay_alu instid0(TRANS32_DEP_1) | instskip(SKIP_2) | instid1(VALU_DEP_2)
	v_ldexp_f32 v1, v8, v5
	v_mul_f32_e32 v5, 0.5, v2
	s_wait_alu 0xfffd
	v_cndmask_b32_e32 v1, 0, v1, vcc_lo
	v_cmp_nlt_f32_e32 vcc_lo, 0x42b17218, v7
	s_delay_alu instid0(VALU_DEP_3) | instskip(SKIP_1) | instid1(VALU_DEP_3)
	v_trunc_f32_e32 v8, v5
	s_wait_alu 0xfffd
	v_dual_add_f32 v0, v6, v0 :: v_dual_cndmask_b32 v1, 0x7f800000, v1
	v_cmp_eq_f32_e32 vcc_lo, v4, v2
	s_delay_alu instid0(VALU_DEP_3) | instskip(NEXT) | instid1(VALU_DEP_3)
	v_cmp_neq_f32_e64 s0, v8, v5
	v_fma_f32 v0, v1, v0, v1
	v_cmp_class_f32_e64 s1, v1, 0x204
	s_and_b32 s0, vcc_lo, s0
	s_wait_alu 0xfffe
	v_cndmask_b32_e64 v4, 1.0, v3, s0
	v_cndmask_b32_e64 v6, 0, v3, s0
	v_cndmask_b32_e64 v0, v0, v1, s1
	;; [unrolled: 1-line block ×3, first 2 shown]
	v_cmp_gt_f32_e64 s1, 0, v2
	v_cmp_class_f32_e64 s0, v3, 0x204
	s_delay_alu instid0(VALU_DEP_4) | instskip(SKIP_3) | instid1(VALU_DEP_2)
	v_bfi_b32 v0, 0x7fffffff, v0, v4
	s_xor_b32 s1, s1, s2
	s_wait_alu 0xfffe
	v_cndmask_b32_e64 v4, 0x7f800000, 0, s1
	v_cndmask_b32_e32 v5, 0x7fc00000, v0, vcc_lo
	v_cmp_neq_f32_e64 vcc_lo, |v3|, 1.0
	s_delay_alu instid0(VALU_DEP_3)
	v_bfi_b32 v4, 0x7fffffff, v4, v6
	s_wait_alu 0xfffd
	v_cndmask_b32_e32 v1, 1.0, v1, vcc_lo
	v_cmp_gt_f32_e32 vcc_lo, 0, v3
	s_wait_alu 0xfffd
	v_cndmask_b32_e32 v0, v0, v5, vcc_lo
	v_cmp_class_f32_e64 vcc_lo, v2, 0x204
	s_wait_alu 0xfffd
	s_delay_alu instid0(VALU_DEP_2)
	v_cndmask_b32_e32 v0, v0, v1, vcc_lo
	s_or_b32 vcc_lo, s2, s0
	v_mov_b32_e32 v1, 0
	s_lshl_b64 s[0:1], s[6:7], 2
	s_wait_alu 0xfffe
	v_cndmask_b32_e32 v0, v0, v4, vcc_lo
	v_cmp_o_f32_e32 vcc_lo, v3, v2
	s_add_nc_u64 s[0:1], s[8:9], s[0:1]
	s_wait_alu 0xfffd
	s_delay_alu instid0(VALU_DEP_2)
	v_cndmask_b32_e32 v0, 0x7fc00000, v0, vcc_lo
	global_store_b32 v1, v0, s[0:1]
.LBB15_12:
	s_endpgm
	.section	.rodata,"a",@progbits
	.p2align	6, 0x0
	.amdhsa_kernel _ZN2at6native12_GLOBAL__N_122pdist_kernel_cuda_implIfNS1_5distsIfE1pEEEvPT_PKS6_llS6_dd
		.amdhsa_group_segment_fixed_size 1024
		.amdhsa_private_segment_fixed_size 0
		.amdhsa_kernarg_size 312
		.amdhsa_user_sgpr_count 2
		.amdhsa_user_sgpr_dispatch_ptr 0
		.amdhsa_user_sgpr_queue_ptr 0
		.amdhsa_user_sgpr_kernarg_segment_ptr 1
		.amdhsa_user_sgpr_dispatch_id 0
		.amdhsa_user_sgpr_private_segment_size 0
		.amdhsa_wavefront_size32 1
		.amdhsa_uses_dynamic_stack 0
		.amdhsa_enable_private_segment 0
		.amdhsa_system_sgpr_workgroup_id_x 1
		.amdhsa_system_sgpr_workgroup_id_y 0
		.amdhsa_system_sgpr_workgroup_id_z 0
		.amdhsa_system_sgpr_workgroup_info 0
		.amdhsa_system_vgpr_workitem_id 0
		.amdhsa_next_free_vgpr 22
		.amdhsa_next_free_sgpr 30
		.amdhsa_reserve_vcc 1
		.amdhsa_float_round_mode_32 0
		.amdhsa_float_round_mode_16_64 0
		.amdhsa_float_denorm_mode_32 3
		.amdhsa_float_denorm_mode_16_64 3
		.amdhsa_fp16_overflow 0
		.amdhsa_workgroup_processor_mode 1
		.amdhsa_memory_ordered 1
		.amdhsa_forward_progress 1
		.amdhsa_inst_pref_size 29
		.amdhsa_round_robin_scheduling 0
		.amdhsa_exception_fp_ieee_invalid_op 0
		.amdhsa_exception_fp_denorm_src 0
		.amdhsa_exception_fp_ieee_div_zero 0
		.amdhsa_exception_fp_ieee_overflow 0
		.amdhsa_exception_fp_ieee_underflow 0
		.amdhsa_exception_fp_ieee_inexact 0
		.amdhsa_exception_int_div_zero 0
	.end_amdhsa_kernel
	.section	.text._ZN2at6native12_GLOBAL__N_122pdist_kernel_cuda_implIfNS1_5distsIfE1pEEEvPT_PKS6_llS6_dd,"axG",@progbits,_ZN2at6native12_GLOBAL__N_122pdist_kernel_cuda_implIfNS1_5distsIfE1pEEEvPT_PKS6_llS6_dd,comdat
.Lfunc_end15:
	.size	_ZN2at6native12_GLOBAL__N_122pdist_kernel_cuda_implIfNS1_5distsIfE1pEEEvPT_PKS6_llS6_dd, .Lfunc_end15-_ZN2at6native12_GLOBAL__N_122pdist_kernel_cuda_implIfNS1_5distsIfE1pEEEvPT_PKS6_llS6_dd
                                        ; -- End function
	.set _ZN2at6native12_GLOBAL__N_122pdist_kernel_cuda_implIfNS1_5distsIfE1pEEEvPT_PKS6_llS6_dd.num_vgpr, 22
	.set _ZN2at6native12_GLOBAL__N_122pdist_kernel_cuda_implIfNS1_5distsIfE1pEEEvPT_PKS6_llS6_dd.num_agpr, 0
	.set _ZN2at6native12_GLOBAL__N_122pdist_kernel_cuda_implIfNS1_5distsIfE1pEEEvPT_PKS6_llS6_dd.numbered_sgpr, 30
	.set _ZN2at6native12_GLOBAL__N_122pdist_kernel_cuda_implIfNS1_5distsIfE1pEEEvPT_PKS6_llS6_dd.num_named_barrier, 0
	.set _ZN2at6native12_GLOBAL__N_122pdist_kernel_cuda_implIfNS1_5distsIfE1pEEEvPT_PKS6_llS6_dd.private_seg_size, 0
	.set _ZN2at6native12_GLOBAL__N_122pdist_kernel_cuda_implIfNS1_5distsIfE1pEEEvPT_PKS6_llS6_dd.uses_vcc, 1
	.set _ZN2at6native12_GLOBAL__N_122pdist_kernel_cuda_implIfNS1_5distsIfE1pEEEvPT_PKS6_llS6_dd.uses_flat_scratch, 0
	.set _ZN2at6native12_GLOBAL__N_122pdist_kernel_cuda_implIfNS1_5distsIfE1pEEEvPT_PKS6_llS6_dd.has_dyn_sized_stack, 0
	.set _ZN2at6native12_GLOBAL__N_122pdist_kernel_cuda_implIfNS1_5distsIfE1pEEEvPT_PKS6_llS6_dd.has_recursion, 0
	.set _ZN2at6native12_GLOBAL__N_122pdist_kernel_cuda_implIfNS1_5distsIfE1pEEEvPT_PKS6_llS6_dd.has_indirect_call, 0
	.section	.AMDGPU.csdata,"",@progbits
; Kernel info:
; codeLenInByte = 3608
; TotalNumSgprs: 32
; NumVgprs: 22
; ScratchSize: 0
; MemoryBound: 0
; FloatMode: 240
; IeeeMode: 1
; LDSByteSize: 1024 bytes/workgroup (compile time only)
; SGPRBlocks: 0
; VGPRBlocks: 2
; NumSGPRsForWavesPerEU: 32
; NumVGPRsForWavesPerEU: 22
; Occupancy: 16
; WaveLimiterHint : 0
; COMPUTE_PGM_RSRC2:SCRATCH_EN: 0
; COMPUTE_PGM_RSRC2:USER_SGPR: 2
; COMPUTE_PGM_RSRC2:TRAP_HANDLER: 0
; COMPUTE_PGM_RSRC2:TGID_X_EN: 1
; COMPUTE_PGM_RSRC2:TGID_Y_EN: 0
; COMPUTE_PGM_RSRC2:TGID_Z_EN: 0
; COMPUTE_PGM_RSRC2:TIDIG_COMP_CNT: 0
	.section	.text._ZN2at6native12_GLOBAL__N_122pdist_kernel_cuda_implIfNS1_5distsIfE4zeroEEEvPT_PKS6_llS6_dd,"axG",@progbits,_ZN2at6native12_GLOBAL__N_122pdist_kernel_cuda_implIfNS1_5distsIfE4zeroEEEvPT_PKS6_llS6_dd,comdat
	.globl	_ZN2at6native12_GLOBAL__N_122pdist_kernel_cuda_implIfNS1_5distsIfE4zeroEEEvPT_PKS6_llS6_dd ; -- Begin function _ZN2at6native12_GLOBAL__N_122pdist_kernel_cuda_implIfNS1_5distsIfE4zeroEEEvPT_PKS6_llS6_dd
	.p2align	8
	.type	_ZN2at6native12_GLOBAL__N_122pdist_kernel_cuda_implIfNS1_5distsIfE4zeroEEEvPT_PKS6_llS6_dd,@function
_ZN2at6native12_GLOBAL__N_122pdist_kernel_cuda_implIfNS1_5distsIfE4zeroEEEvPT_PKS6_llS6_dd: ; @_ZN2at6native12_GLOBAL__N_122pdist_kernel_cuda_implIfNS1_5distsIfE4zeroEEEvPT_PKS6_llS6_dd
; %bb.0:
	s_clause 0x1
	s_load_b256 s[4:11], s[0:1], 0x0
	s_load_b32 s12, s[0:1], 0x44
	v_mov_b32_e32 v1, 0
	s_mov_b32 s2, ttmp9
	s_mov_b32 s3, 0
	s_mov_b32 s13, exec_lo
	s_wait_kmcnt 0x0
	v_cmpx_gt_i64_e64 s[10:11], v[0:1]
	s_cbranch_execz .LBB16_8
; %bb.1:
	s_lshl_b64 s[14:15], s[2:3], 1
	s_load_b128 s[16:19], s[0:1], 0x28
	v_cvt_f64_u32_e32 v[1:2], s15
	v_cvt_f64_u32_e32 v[3:4], s14
	s_mov_b32 s15, s3
	s_delay_alu instid0(VALU_DEP_2) | instskip(NEXT) | instid1(VALU_DEP_1)
	v_ldexp_f64 v[1:2], v[1:2], 32
	v_add_f64_e32 v[1:2], v[1:2], v[3:4]
	s_wait_kmcnt 0x0
	s_delay_alu instid0(VALU_DEP_1) | instskip(NEXT) | instid1(VALU_DEP_1)
	v_add_f64_e64 v[1:2], s[18:19], -v[1:2]
	v_cmp_gt_f64_e32 vcc_lo, 0x10000000, v[1:2]
	s_and_b32 s0, vcc_lo, exec_lo
	s_cselect_b32 s0, 0x100, 0
	s_delay_alu instid0(SALU_CYCLE_1) | instskip(SKIP_2) | instid1(VALU_DEP_1)
	v_ldexp_f64 v[1:2], v[1:2], s0
	s_cselect_b32 s0, 0xffffff80, 0
	s_lshl_b64 s[20:21], s[10:11], 2
	v_rsq_f64_e32 v[3:4], v[1:2]
	v_cmp_class_f64_e64 vcc_lo, v[1:2], 0x260
	s_delay_alu instid0(TRANS32_DEP_1) | instskip(SKIP_1) | instid1(VALU_DEP_1)
	v_mul_f64_e32 v[5:6], v[1:2], v[3:4]
	v_mul_f64_e32 v[3:4], 0.5, v[3:4]
	v_fma_f64 v[7:8], -v[3:4], v[5:6], 0.5
	s_delay_alu instid0(VALU_DEP_1) | instskip(SKIP_1) | instid1(VALU_DEP_2)
	v_fma_f64 v[5:6], v[5:6], v[7:8], v[5:6]
	v_fma_f64 v[3:4], v[3:4], v[7:8], v[3:4]
	v_fma_f64 v[7:8], -v[5:6], v[5:6], v[1:2]
	s_delay_alu instid0(VALU_DEP_1) | instskip(NEXT) | instid1(VALU_DEP_1)
	v_fma_f64 v[5:6], v[7:8], v[3:4], v[5:6]
	v_fma_f64 v[7:8], -v[5:6], v[5:6], v[1:2]
	s_delay_alu instid0(VALU_DEP_1) | instskip(SKIP_1) | instid1(VALU_DEP_1)
	v_fma_f64 v[3:4], v[7:8], v[3:4], v[5:6]
	s_wait_alu 0xfffe
	v_ldexp_f64 v[3:4], v[3:4], s0
	s_delay_alu instid0(VALU_DEP_1) | instskip(NEXT) | instid1(VALU_DEP_1)
	v_dual_cndmask_b32 v2, v4, v2 :: v_dual_cndmask_b32 v1, v3, v1
	v_add_f64_e64 v[1:2], s[16:17], -v[1:2]
	s_mov_b32 s17, s3
	s_delay_alu instid0(VALU_DEP_1) | instskip(NEXT) | instid1(VALU_DEP_1)
	v_trunc_f64_e32 v[1:2], v[1:2]
	v_ldexp_f64 v[3:4], v[1:2], 0xffffffe0
	s_delay_alu instid0(VALU_DEP_1) | instskip(NEXT) | instid1(VALU_DEP_1)
	v_floor_f64_e32 v[3:4], v[3:4]
	v_fma_f64 v[1:2], 0xc1f00000, v[3:4], v[1:2]
	v_cvt_i32_f64_e32 v3, v[3:4]
	v_mov_b32_e32 v4, 0
	s_delay_alu instid0(VALU_DEP_3) | instskip(NEXT) | instid1(VALU_DEP_3)
	v_cvt_u32_f64_e32 v1, v[1:2]
	v_readfirstlane_b32 s19, v3
	v_lshlrev_b32_e32 v2, 2, v0
	s_delay_alu instid0(VALU_DEP_1)
	v_add_co_u32 v5, s0, s6, v2
	s_wait_alu 0xf1ff
	v_add_co_ci_u32_e64 v6, null, s7, 0, s0
	s_and_b32 s0, s12, 0xffff
	s_wait_alu 0xfffe
	s_lshl_b32 s1, s0, 2
	s_lshl_b32 s14, s0, 2
	v_readfirstlane_b32 s18, v1
	s_add_nc_u64 s[24:25], s[18:19], 1
	s_mul_u64 s[22:23], s[10:11], s[18:19]
	s_mul_u64 s[26:27], s[8:9], s[18:19]
	;; [unrolled: 1-line block ×3, first 2 shown]
	s_lshl_b64 s[8:9], s[22:23], 2
	s_wait_alu 0xfffe
	s_lshr_b32 s16, s19, 31
	s_add_nc_u64 s[22:23], s[24:25], s[2:3]
	s_wait_alu 0xfffe
	s_add_nc_u64 s[16:17], s[18:19], s[16:17]
	s_add_nc_u64 s[6:7], s[6:7], s[8:9]
	s_sub_nc_u64 s[18:19], s[22:23], s[26:27]
	s_wait_alu 0xfffe
	s_lshr_b64 s[16:17], s[16:17], 1
	v_add_co_u32 v2, s0, s6, v2
	s_wait_alu 0xfffe
	s_add_nc_u64 s[16:17], s[18:19], s[16:17]
	v_add_co_ci_u32_e64 v3, null, s7, 0, s0
	s_wait_alu 0xfffe
	s_mul_u64 s[10:11], s[10:11], s[16:17]
	s_add_nc_u64 s[6:7], s[6:7], s[20:21]
	s_wait_alu 0xfffe
	s_lshl_b64 s[10:11], s[10:11], 2
	s_branch .LBB16_4
.LBB16_2:                               ;   in Loop: Header=BB16_4 Depth=1
	s_wait_alu 0xfffe
	s_or_b32 exec_lo, exec_lo, s16
	s_delay_alu instid0(VALU_DEP_1)
	v_mov_b32_e32 v1, v4
.LBB16_3:                               ;   in Loop: Header=BB16_4 Depth=1
	s_wait_alu 0xfffe
	s_or_b32 exec_lo, exec_lo, s0
	v_add_co_u32 v2, vcc_lo, v2, s14
	s_wait_alu 0xfffd
	v_add_co_ci_u32_e64 v3, null, 0, v3, vcc_lo
	v_add_co_u32 v5, s0, v5, s1
	s_wait_alu 0xf1ff
	v_add_co_ci_u32_e64 v6, null, 0, v6, s0
	s_delay_alu instid0(VALU_DEP_3)
	v_cmp_le_u64_e32 vcc_lo, s[6:7], v[2:3]
	v_mov_b32_e32 v4, v1
	s_or_b32 s15, vcc_lo, s15
	s_wait_alu 0xfffe
	s_and_not1_b32 exec_lo, exec_lo, s15
	s_cbranch_execz .LBB16_7
.LBB16_4:                               ; =>This Inner Loop Header: Depth=1
	v_add_co_u32 v7, vcc_lo, v5, s8
	s_wait_alu 0xfffd
	v_add_co_ci_u32_e64 v8, null, s9, v6, vcc_lo
	s_wait_alu 0xfffe
	v_add_co_u32 v9, vcc_lo, v5, s10
	s_wait_alu 0xfffd
	v_add_co_ci_u32_e64 v10, null, s11, v6, vcc_lo
	s_clause 0x1
	global_load_b32 v1, v[7:8], off
	global_load_b32 v7, v[9:10], off
	s_mov_b32 s0, exec_lo
	s_wait_loadcnt 0x0
	v_sub_f32_e32 v7, v1, v7
	s_delay_alu instid0(VALU_DEP_1)
	v_and_b32_e32 v1, 0x7fffffff, v7
	v_cmpx_o_f32_e32 v7, v7
	s_cbranch_execz .LBB16_3
; %bb.5:                                ;   in Loop: Header=BB16_4 Depth=1
	s_mov_b32 s16, exec_lo
	v_cmpx_neq_f32_e32 0, v7
	s_cbranch_execz .LBB16_2
; %bb.6:                                ;   in Loop: Header=BB16_4 Depth=1
	v_add_f32_e32 v4, 1.0, v4
	s_branch .LBB16_2
.LBB16_7:
	s_or_b32 exec_lo, exec_lo, s15
.LBB16_8:
	s_delay_alu instid0(SALU_CYCLE_1) | instskip(SKIP_4) | instid1(VALU_DEP_1)
	s_or_b32 exec_lo, exec_lo, s13
	v_mbcnt_lo_u32_b32 v5, -1, 0
	s_mov_b32 s0, exec_lo
	s_barrier_signal -1
	s_barrier_wait -1
	v_lshl_or_b32 v2, v5, 2, 64
	v_cmp_gt_u32_e32 vcc_lo, 24, v5
	global_inv scope:SCOPE_SE
	ds_bpermute_b32 v4, v2, v1
	s_wait_alu 0xfffd
	v_cndmask_b32_e64 v3, 0, 8, vcc_lo
	v_cmp_gt_u32_e32 vcc_lo, 28, v5
	s_delay_alu instid0(VALU_DEP_2)
	v_add_lshl_u32 v3, v3, v5, 2
	s_wait_dscnt 0x0
	v_add_f32_e32 v4, v1, v4
	s_wait_alu 0xfffd
	v_cndmask_b32_e64 v1, 0, 4, vcc_lo
	v_cmp_gt_u32_e32 vcc_lo, 30, v5
	ds_bpermute_b32 v6, v3, v4
	v_add_lshl_u32 v1, v1, v5, 2
	s_wait_dscnt 0x0
	v_add_f32_e32 v6, v4, v6
	s_wait_alu 0xfffd
	v_cndmask_b32_e64 v4, 0, 2, vcc_lo
	v_cmp_ne_u32_e32 vcc_lo, 31, v5
	ds_bpermute_b32 v7, v1, v6
	v_add_lshl_u32 v4, v4, v5, 2
	s_wait_alu 0xfffd
	v_add_co_ci_u32_e64 v5, null, 0, v5, vcc_lo
	s_wait_dscnt 0x0
	s_delay_alu instid0(VALU_DEP_1)
	v_dual_add_f32 v6, v6, v7 :: v_dual_lshlrev_b32 v5, 2, v5
	ds_bpermute_b32 v7, v4, v6
	s_wait_dscnt 0x0
	v_dual_add_f32 v6, v6, v7 :: v_dual_and_b32 v7, 31, v0
	ds_bpermute_b32 v8, v5, v6
	v_cmpx_eq_u32_e32 0, v7
	s_cbranch_execz .LBB16_10
; %bb.9:
	s_wait_dscnt 0x0
	v_add_f32_e32 v6, v6, v8
	v_lshrrev_b32_e32 v8, 3, v0
	ds_store_b32 v8, v6
.LBB16_10:
	s_wait_alu 0xfffe
	s_or_b32 exec_lo, exec_lo, s0
	s_and_b32 s0, 0xffff, s12
	v_mov_b32_e32 v6, 0
	s_wait_alu 0xfffe
	s_lshr_b32 s0, s0, 5
	s_wait_loadcnt_dscnt 0x0
	s_wait_alu 0xfffe
	v_cmp_gt_u32_e32 vcc_lo, s0, v0
	s_barrier_signal -1
	s_barrier_wait -1
	global_inv scope:SCOPE_SE
	s_and_saveexec_b32 s0, vcc_lo
; %bb.11:
	v_lshlrev_b32_e32 v6, 2, v7
	ds_load_b32 v6, v6
; %bb.12:
	s_wait_alu 0xfffe
	s_or_b32 exec_lo, exec_lo, s0
	s_delay_alu instid0(SALU_CYCLE_1)
	s_mov_b32 s0, exec_lo
	v_cmpx_gt_u32_e32 32, v0
	s_cbranch_execz .LBB16_14
; %bb.13:
	s_wait_dscnt 0x0
	ds_bpermute_b32 v2, v2, v6
	s_wait_dscnt 0x0
	v_add_f32_e32 v2, v6, v2
	ds_bpermute_b32 v3, v3, v2
	s_wait_dscnt 0x0
	v_add_f32_e32 v2, v2, v3
	;; [unrolled: 3-line block ×5, first 2 shown]
.LBB16_14:
	s_wait_alu 0xfffe
	s_or_b32 exec_lo, exec_lo, s0
	s_delay_alu instid0(SALU_CYCLE_1)
	s_mov_b32 s0, exec_lo
	v_cmpx_eq_u32_e32 0, v0
	s_cbranch_execz .LBB16_16
; %bb.15:
	v_mov_b32_e32 v0, 0
	s_lshl_b64 s[0:1], s[2:3], 2
	s_wait_alu 0xfffe
	s_add_nc_u64 s[0:1], s[4:5], s[0:1]
	s_wait_dscnt 0x0
	global_store_b32 v0, v6, s[0:1]
.LBB16_16:
	s_endpgm
	.section	.rodata,"a",@progbits
	.p2align	6, 0x0
	.amdhsa_kernel _ZN2at6native12_GLOBAL__N_122pdist_kernel_cuda_implIfNS1_5distsIfE4zeroEEEvPT_PKS6_llS6_dd
		.amdhsa_group_segment_fixed_size 1024
		.amdhsa_private_segment_fixed_size 0
		.amdhsa_kernarg_size 312
		.amdhsa_user_sgpr_count 2
		.amdhsa_user_sgpr_dispatch_ptr 0
		.amdhsa_user_sgpr_queue_ptr 0
		.amdhsa_user_sgpr_kernarg_segment_ptr 1
		.amdhsa_user_sgpr_dispatch_id 0
		.amdhsa_user_sgpr_private_segment_size 0
		.amdhsa_wavefront_size32 1
		.amdhsa_uses_dynamic_stack 0
		.amdhsa_enable_private_segment 0
		.amdhsa_system_sgpr_workgroup_id_x 1
		.amdhsa_system_sgpr_workgroup_id_y 0
		.amdhsa_system_sgpr_workgroup_id_z 0
		.amdhsa_system_sgpr_workgroup_info 0
		.amdhsa_system_vgpr_workitem_id 0
		.amdhsa_next_free_vgpr 11
		.amdhsa_next_free_sgpr 28
		.amdhsa_reserve_vcc 1
		.amdhsa_float_round_mode_32 0
		.amdhsa_float_round_mode_16_64 0
		.amdhsa_float_denorm_mode_32 3
		.amdhsa_float_denorm_mode_16_64 3
		.amdhsa_fp16_overflow 0
		.amdhsa_workgroup_processor_mode 1
		.amdhsa_memory_ordered 1
		.amdhsa_forward_progress 1
		.amdhsa_inst_pref_size 10
		.amdhsa_round_robin_scheduling 0
		.amdhsa_exception_fp_ieee_invalid_op 0
		.amdhsa_exception_fp_denorm_src 0
		.amdhsa_exception_fp_ieee_div_zero 0
		.amdhsa_exception_fp_ieee_overflow 0
		.amdhsa_exception_fp_ieee_underflow 0
		.amdhsa_exception_fp_ieee_inexact 0
		.amdhsa_exception_int_div_zero 0
	.end_amdhsa_kernel
	.section	.text._ZN2at6native12_GLOBAL__N_122pdist_kernel_cuda_implIfNS1_5distsIfE4zeroEEEvPT_PKS6_llS6_dd,"axG",@progbits,_ZN2at6native12_GLOBAL__N_122pdist_kernel_cuda_implIfNS1_5distsIfE4zeroEEEvPT_PKS6_llS6_dd,comdat
.Lfunc_end16:
	.size	_ZN2at6native12_GLOBAL__N_122pdist_kernel_cuda_implIfNS1_5distsIfE4zeroEEEvPT_PKS6_llS6_dd, .Lfunc_end16-_ZN2at6native12_GLOBAL__N_122pdist_kernel_cuda_implIfNS1_5distsIfE4zeroEEEvPT_PKS6_llS6_dd
                                        ; -- End function
	.set _ZN2at6native12_GLOBAL__N_122pdist_kernel_cuda_implIfNS1_5distsIfE4zeroEEEvPT_PKS6_llS6_dd.num_vgpr, 11
	.set _ZN2at6native12_GLOBAL__N_122pdist_kernel_cuda_implIfNS1_5distsIfE4zeroEEEvPT_PKS6_llS6_dd.num_agpr, 0
	.set _ZN2at6native12_GLOBAL__N_122pdist_kernel_cuda_implIfNS1_5distsIfE4zeroEEEvPT_PKS6_llS6_dd.numbered_sgpr, 28
	.set _ZN2at6native12_GLOBAL__N_122pdist_kernel_cuda_implIfNS1_5distsIfE4zeroEEEvPT_PKS6_llS6_dd.num_named_barrier, 0
	.set _ZN2at6native12_GLOBAL__N_122pdist_kernel_cuda_implIfNS1_5distsIfE4zeroEEEvPT_PKS6_llS6_dd.private_seg_size, 0
	.set _ZN2at6native12_GLOBAL__N_122pdist_kernel_cuda_implIfNS1_5distsIfE4zeroEEEvPT_PKS6_llS6_dd.uses_vcc, 1
	.set _ZN2at6native12_GLOBAL__N_122pdist_kernel_cuda_implIfNS1_5distsIfE4zeroEEEvPT_PKS6_llS6_dd.uses_flat_scratch, 0
	.set _ZN2at6native12_GLOBAL__N_122pdist_kernel_cuda_implIfNS1_5distsIfE4zeroEEEvPT_PKS6_llS6_dd.has_dyn_sized_stack, 0
	.set _ZN2at6native12_GLOBAL__N_122pdist_kernel_cuda_implIfNS1_5distsIfE4zeroEEEvPT_PKS6_llS6_dd.has_recursion, 0
	.set _ZN2at6native12_GLOBAL__N_122pdist_kernel_cuda_implIfNS1_5distsIfE4zeroEEEvPT_PKS6_llS6_dd.has_indirect_call, 0
	.section	.AMDGPU.csdata,"",@progbits
; Kernel info:
; codeLenInByte = 1216
; TotalNumSgprs: 30
; NumVgprs: 11
; ScratchSize: 0
; MemoryBound: 0
; FloatMode: 240
; IeeeMode: 1
; LDSByteSize: 1024 bytes/workgroup (compile time only)
; SGPRBlocks: 0
; VGPRBlocks: 1
; NumSGPRsForWavesPerEU: 30
; NumVGPRsForWavesPerEU: 11
; Occupancy: 16
; WaveLimiterHint : 0
; COMPUTE_PGM_RSRC2:SCRATCH_EN: 0
; COMPUTE_PGM_RSRC2:USER_SGPR: 2
; COMPUTE_PGM_RSRC2:TRAP_HANDLER: 0
; COMPUTE_PGM_RSRC2:TGID_X_EN: 1
; COMPUTE_PGM_RSRC2:TGID_Y_EN: 0
; COMPUTE_PGM_RSRC2:TGID_Z_EN: 0
; COMPUTE_PGM_RSRC2:TIDIG_COMP_CNT: 0
	.section	.text._ZN2at6native12_GLOBAL__N_122pdist_kernel_cuda_implIfNS1_5distsIfE3oneEEEvPT_PKS6_llS6_dd,"axG",@progbits,_ZN2at6native12_GLOBAL__N_122pdist_kernel_cuda_implIfNS1_5distsIfE3oneEEEvPT_PKS6_llS6_dd,comdat
	.globl	_ZN2at6native12_GLOBAL__N_122pdist_kernel_cuda_implIfNS1_5distsIfE3oneEEEvPT_PKS6_llS6_dd ; -- Begin function _ZN2at6native12_GLOBAL__N_122pdist_kernel_cuda_implIfNS1_5distsIfE3oneEEEvPT_PKS6_llS6_dd
	.p2align	8
	.type	_ZN2at6native12_GLOBAL__N_122pdist_kernel_cuda_implIfNS1_5distsIfE3oneEEEvPT_PKS6_llS6_dd,@function
_ZN2at6native12_GLOBAL__N_122pdist_kernel_cuda_implIfNS1_5distsIfE3oneEEEvPT_PKS6_llS6_dd: ; @_ZN2at6native12_GLOBAL__N_122pdist_kernel_cuda_implIfNS1_5distsIfE3oneEEEvPT_PKS6_llS6_dd
; %bb.0:
	s_clause 0x1
	s_load_b256 s[4:11], s[0:1], 0x0
	s_load_b32 s12, s[0:1], 0x44
	v_mov_b32_e32 v1, 0
	s_mov_b32 s2, ttmp9
	s_mov_b32 s3, 0
	s_mov_b32 s13, exec_lo
	s_wait_kmcnt 0x0
	v_cmpx_gt_i64_e64 s[10:11], v[0:1]
	s_cbranch_execz .LBB17_4
; %bb.1:
	s_lshl_b64 s[14:15], s[2:3], 1
	s_load_b128 s[16:19], s[0:1], 0x28
	v_cvt_f64_u32_e32 v[1:2], s15
	v_cvt_f64_u32_e32 v[3:4], s14
	s_mov_b32 s15, s3
	s_delay_alu instid0(VALU_DEP_2) | instskip(NEXT) | instid1(VALU_DEP_1)
	v_ldexp_f64 v[1:2], v[1:2], 32
	v_add_f64_e32 v[1:2], v[1:2], v[3:4]
	s_wait_kmcnt 0x0
	s_delay_alu instid0(VALU_DEP_1) | instskip(NEXT) | instid1(VALU_DEP_1)
	v_add_f64_e64 v[1:2], s[18:19], -v[1:2]
	v_cmp_gt_f64_e32 vcc_lo, 0x10000000, v[1:2]
	s_and_b32 s0, vcc_lo, exec_lo
	s_cselect_b32 s0, 0x100, 0
	s_delay_alu instid0(SALU_CYCLE_1) | instskip(SKIP_2) | instid1(VALU_DEP_1)
	v_ldexp_f64 v[1:2], v[1:2], s0
	s_cselect_b32 s0, 0xffffff80, 0
	s_lshl_b64 s[20:21], s[10:11], 2
	v_rsq_f64_e32 v[3:4], v[1:2]
	v_cmp_class_f64_e64 vcc_lo, v[1:2], 0x260
	s_delay_alu instid0(TRANS32_DEP_1) | instskip(SKIP_1) | instid1(VALU_DEP_1)
	v_mul_f64_e32 v[5:6], v[1:2], v[3:4]
	v_mul_f64_e32 v[3:4], 0.5, v[3:4]
	v_fma_f64 v[7:8], -v[3:4], v[5:6], 0.5
	s_delay_alu instid0(VALU_DEP_1) | instskip(SKIP_1) | instid1(VALU_DEP_2)
	v_fma_f64 v[5:6], v[5:6], v[7:8], v[5:6]
	v_fma_f64 v[3:4], v[3:4], v[7:8], v[3:4]
	v_fma_f64 v[7:8], -v[5:6], v[5:6], v[1:2]
	s_delay_alu instid0(VALU_DEP_1) | instskip(NEXT) | instid1(VALU_DEP_1)
	v_fma_f64 v[5:6], v[7:8], v[3:4], v[5:6]
	v_fma_f64 v[7:8], -v[5:6], v[5:6], v[1:2]
	s_delay_alu instid0(VALU_DEP_1) | instskip(SKIP_2) | instid1(VALU_DEP_2)
	v_fma_f64 v[3:4], v[7:8], v[3:4], v[5:6]
	v_lshlrev_b32_e32 v6, 2, v0
	s_wait_alu 0xfffe
	v_ldexp_f64 v[3:4], v[3:4], s0
	s_delay_alu instid0(VALU_DEP_1) | instskip(NEXT) | instid1(VALU_DEP_1)
	v_dual_cndmask_b32 v2, v4, v2 :: v_dual_cndmask_b32 v1, v3, v1
	v_add_f64_e64 v[1:2], s[16:17], -v[1:2]
	s_mov_b32 s17, s3
	s_delay_alu instid0(VALU_DEP_1) | instskip(NEXT) | instid1(VALU_DEP_1)
	v_trunc_f64_e32 v[1:2], v[1:2]
	v_ldexp_f64 v[3:4], v[1:2], 0xffffffe0
	s_delay_alu instid0(VALU_DEP_1) | instskip(NEXT) | instid1(VALU_DEP_1)
	v_floor_f64_e32 v[3:4], v[3:4]
	v_fma_f64 v[1:2], 0xc1f00000, v[3:4], v[1:2]
	v_cvt_i32_f64_e32 v3, v[3:4]
	s_delay_alu instid0(VALU_DEP_2) | instskip(NEXT) | instid1(VALU_DEP_2)
	v_cvt_u32_f64_e32 v2, v[1:2]
	v_readfirstlane_b32 s19, v3
	v_mov_b32_e32 v1, 0
	v_add_co_u32 v4, s0, s6, v6
	s_wait_alu 0xf1ff
	v_add_co_ci_u32_e64 v5, null, s7, 0, s0
	s_and_b32 s0, s12, 0xffff
	s_wait_alu 0xfffe
	s_lshl_b32 s1, s0, 2
	s_lshl_b32 s14, s0, 2
	v_readfirstlane_b32 s18, v2
	s_add_nc_u64 s[24:25], s[18:19], 1
	s_mul_u64 s[22:23], s[10:11], s[18:19]
	s_mul_u64 s[26:27], s[8:9], s[18:19]
	;; [unrolled: 1-line block ×3, first 2 shown]
	s_lshl_b64 s[8:9], s[22:23], 2
	s_wait_alu 0xfffe
	s_lshr_b32 s16, s19, 31
	s_add_nc_u64 s[22:23], s[24:25], s[2:3]
	s_wait_alu 0xfffe
	s_add_nc_u64 s[16:17], s[18:19], s[16:17]
	s_add_nc_u64 s[6:7], s[6:7], s[8:9]
	s_sub_nc_u64 s[18:19], s[22:23], s[26:27]
	s_wait_alu 0xfffe
	s_lshr_b64 s[16:17], s[16:17], 1
	v_add_co_u32 v2, s0, s6, v6
	s_wait_alu 0xfffe
	s_add_nc_u64 s[16:17], s[18:19], s[16:17]
	v_add_co_ci_u32_e64 v3, null, s7, 0, s0
	s_wait_alu 0xfffe
	s_mul_u64 s[10:11], s[10:11], s[16:17]
	s_add_nc_u64 s[6:7], s[6:7], s[20:21]
	s_wait_alu 0xfffe
	s_lshl_b64 s[10:11], s[10:11], 2
.LBB17_2:                               ; =>This Inner Loop Header: Depth=1
	v_add_co_u32 v6, vcc_lo, v4, s8
	s_wait_alu 0xfffd
	v_add_co_ci_u32_e64 v7, null, s9, v5, vcc_lo
	s_wait_alu 0xfffe
	v_add_co_u32 v8, vcc_lo, v4, s10
	s_wait_alu 0xfffd
	v_add_co_ci_u32_e64 v9, null, s11, v5, vcc_lo
	s_clause 0x1
	global_load_b32 v6, v[6:7], off
	global_load_b32 v7, v[8:9], off
	v_add_co_u32 v2, vcc_lo, v2, s14
	s_wait_alu 0xfffd
	v_add_co_ci_u32_e64 v3, null, 0, v3, vcc_lo
	v_add_co_u32 v4, s0, v4, s1
	s_wait_alu 0xf1ff
	v_add_co_ci_u32_e64 v5, null, 0, v5, s0
	s_delay_alu instid0(VALU_DEP_3) | instskip(SKIP_3) | instid1(VALU_DEP_1)
	v_cmp_le_u64_e32 vcc_lo, s[6:7], v[2:3]
	s_or_b32 s15, vcc_lo, s15
	s_wait_loadcnt 0x0
	v_sub_f32_e32 v6, v6, v7
	v_add_f32_e64 v1, v1, |v6|
	s_wait_alu 0xfffe
	s_and_not1_b32 exec_lo, exec_lo, s15
	s_cbranch_execnz .LBB17_2
; %bb.3:
	s_or_b32 exec_lo, exec_lo, s15
.LBB17_4:
	s_delay_alu instid0(SALU_CYCLE_1) | instskip(SKIP_4) | instid1(VALU_DEP_1)
	s_or_b32 exec_lo, exec_lo, s13
	v_mbcnt_lo_u32_b32 v5, -1, 0
	s_mov_b32 s0, exec_lo
	s_barrier_signal -1
	s_barrier_wait -1
	v_lshl_or_b32 v2, v5, 2, 64
	v_cmp_gt_u32_e32 vcc_lo, 24, v5
	global_inv scope:SCOPE_SE
	ds_bpermute_b32 v4, v2, v1
	s_wait_alu 0xfffd
	v_cndmask_b32_e64 v3, 0, 8, vcc_lo
	v_cmp_gt_u32_e32 vcc_lo, 28, v5
	s_delay_alu instid0(VALU_DEP_2)
	v_add_lshl_u32 v3, v3, v5, 2
	s_wait_dscnt 0x0
	v_add_f32_e32 v4, v1, v4
	s_wait_alu 0xfffd
	v_cndmask_b32_e64 v1, 0, 4, vcc_lo
	v_cmp_gt_u32_e32 vcc_lo, 30, v5
	ds_bpermute_b32 v6, v3, v4
	v_add_lshl_u32 v1, v1, v5, 2
	s_wait_dscnt 0x0
	v_add_f32_e32 v6, v4, v6
	s_wait_alu 0xfffd
	v_cndmask_b32_e64 v4, 0, 2, vcc_lo
	v_cmp_ne_u32_e32 vcc_lo, 31, v5
	ds_bpermute_b32 v7, v1, v6
	v_add_lshl_u32 v4, v4, v5, 2
	s_wait_alu 0xfffd
	v_add_co_ci_u32_e64 v5, null, 0, v5, vcc_lo
	s_wait_dscnt 0x0
	s_delay_alu instid0(VALU_DEP_1)
	v_dual_add_f32 v6, v6, v7 :: v_dual_lshlrev_b32 v5, 2, v5
	ds_bpermute_b32 v7, v4, v6
	s_wait_dscnt 0x0
	v_dual_add_f32 v6, v6, v7 :: v_dual_and_b32 v7, 31, v0
	ds_bpermute_b32 v8, v5, v6
	v_cmpx_eq_u32_e32 0, v7
	s_cbranch_execz .LBB17_6
; %bb.5:
	s_wait_dscnt 0x0
	v_add_f32_e32 v6, v6, v8
	v_lshrrev_b32_e32 v8, 3, v0
	ds_store_b32 v8, v6
.LBB17_6:
	s_wait_alu 0xfffe
	s_or_b32 exec_lo, exec_lo, s0
	s_and_b32 s0, 0xffff, s12
	v_mov_b32_e32 v6, 0
	s_wait_alu 0xfffe
	s_lshr_b32 s0, s0, 5
	s_wait_loadcnt_dscnt 0x0
	s_wait_alu 0xfffe
	v_cmp_gt_u32_e32 vcc_lo, s0, v0
	s_barrier_signal -1
	s_barrier_wait -1
	global_inv scope:SCOPE_SE
	s_and_saveexec_b32 s0, vcc_lo
; %bb.7:
	v_lshlrev_b32_e32 v6, 2, v7
	ds_load_b32 v6, v6
; %bb.8:
	s_wait_alu 0xfffe
	s_or_b32 exec_lo, exec_lo, s0
	s_delay_alu instid0(SALU_CYCLE_1)
	s_mov_b32 s0, exec_lo
	v_cmpx_gt_u32_e32 32, v0
	s_cbranch_execz .LBB17_10
; %bb.9:
	s_wait_dscnt 0x0
	ds_bpermute_b32 v2, v2, v6
	s_wait_dscnt 0x0
	v_add_f32_e32 v2, v6, v2
	ds_bpermute_b32 v3, v3, v2
	s_wait_dscnt 0x0
	v_add_f32_e32 v2, v2, v3
	;; [unrolled: 3-line block ×5, first 2 shown]
.LBB17_10:
	s_wait_alu 0xfffe
	s_or_b32 exec_lo, exec_lo, s0
	s_delay_alu instid0(SALU_CYCLE_1)
	s_mov_b32 s0, exec_lo
	v_cmpx_eq_u32_e32 0, v0
	s_cbranch_execz .LBB17_12
; %bb.11:
	v_mov_b32_e32 v0, 0
	s_lshl_b64 s[0:1], s[2:3], 2
	s_wait_alu 0xfffe
	s_add_nc_u64 s[0:1], s[4:5], s[0:1]
	s_wait_dscnt 0x0
	global_store_b32 v0, v6, s[0:1]
.LBB17_12:
	s_endpgm
	.section	.rodata,"a",@progbits
	.p2align	6, 0x0
	.amdhsa_kernel _ZN2at6native12_GLOBAL__N_122pdist_kernel_cuda_implIfNS1_5distsIfE3oneEEEvPT_PKS6_llS6_dd
		.amdhsa_group_segment_fixed_size 1024
		.amdhsa_private_segment_fixed_size 0
		.amdhsa_kernarg_size 312
		.amdhsa_user_sgpr_count 2
		.amdhsa_user_sgpr_dispatch_ptr 0
		.amdhsa_user_sgpr_queue_ptr 0
		.amdhsa_user_sgpr_kernarg_segment_ptr 1
		.amdhsa_user_sgpr_dispatch_id 0
		.amdhsa_user_sgpr_private_segment_size 0
		.amdhsa_wavefront_size32 1
		.amdhsa_uses_dynamic_stack 0
		.amdhsa_enable_private_segment 0
		.amdhsa_system_sgpr_workgroup_id_x 1
		.amdhsa_system_sgpr_workgroup_id_y 0
		.amdhsa_system_sgpr_workgroup_id_z 0
		.amdhsa_system_sgpr_workgroup_info 0
		.amdhsa_system_vgpr_workitem_id 0
		.amdhsa_next_free_vgpr 10
		.amdhsa_next_free_sgpr 28
		.amdhsa_reserve_vcc 1
		.amdhsa_float_round_mode_32 0
		.amdhsa_float_round_mode_16_64 0
		.amdhsa_float_denorm_mode_32 3
		.amdhsa_float_denorm_mode_16_64 3
		.amdhsa_fp16_overflow 0
		.amdhsa_workgroup_processor_mode 1
		.amdhsa_memory_ordered 1
		.amdhsa_forward_progress 1
		.amdhsa_inst_pref_size 9
		.amdhsa_round_robin_scheduling 0
		.amdhsa_exception_fp_ieee_invalid_op 0
		.amdhsa_exception_fp_denorm_src 0
		.amdhsa_exception_fp_ieee_div_zero 0
		.amdhsa_exception_fp_ieee_overflow 0
		.amdhsa_exception_fp_ieee_underflow 0
		.amdhsa_exception_fp_ieee_inexact 0
		.amdhsa_exception_int_div_zero 0
	.end_amdhsa_kernel
	.section	.text._ZN2at6native12_GLOBAL__N_122pdist_kernel_cuda_implIfNS1_5distsIfE3oneEEEvPT_PKS6_llS6_dd,"axG",@progbits,_ZN2at6native12_GLOBAL__N_122pdist_kernel_cuda_implIfNS1_5distsIfE3oneEEEvPT_PKS6_llS6_dd,comdat
.Lfunc_end17:
	.size	_ZN2at6native12_GLOBAL__N_122pdist_kernel_cuda_implIfNS1_5distsIfE3oneEEEvPT_PKS6_llS6_dd, .Lfunc_end17-_ZN2at6native12_GLOBAL__N_122pdist_kernel_cuda_implIfNS1_5distsIfE3oneEEEvPT_PKS6_llS6_dd
                                        ; -- End function
	.set _ZN2at6native12_GLOBAL__N_122pdist_kernel_cuda_implIfNS1_5distsIfE3oneEEEvPT_PKS6_llS6_dd.num_vgpr, 10
	.set _ZN2at6native12_GLOBAL__N_122pdist_kernel_cuda_implIfNS1_5distsIfE3oneEEEvPT_PKS6_llS6_dd.num_agpr, 0
	.set _ZN2at6native12_GLOBAL__N_122pdist_kernel_cuda_implIfNS1_5distsIfE3oneEEEvPT_PKS6_llS6_dd.numbered_sgpr, 28
	.set _ZN2at6native12_GLOBAL__N_122pdist_kernel_cuda_implIfNS1_5distsIfE3oneEEEvPT_PKS6_llS6_dd.num_named_barrier, 0
	.set _ZN2at6native12_GLOBAL__N_122pdist_kernel_cuda_implIfNS1_5distsIfE3oneEEEvPT_PKS6_llS6_dd.private_seg_size, 0
	.set _ZN2at6native12_GLOBAL__N_122pdist_kernel_cuda_implIfNS1_5distsIfE3oneEEEvPT_PKS6_llS6_dd.uses_vcc, 1
	.set _ZN2at6native12_GLOBAL__N_122pdist_kernel_cuda_implIfNS1_5distsIfE3oneEEEvPT_PKS6_llS6_dd.uses_flat_scratch, 0
	.set _ZN2at6native12_GLOBAL__N_122pdist_kernel_cuda_implIfNS1_5distsIfE3oneEEEvPT_PKS6_llS6_dd.has_dyn_sized_stack, 0
	.set _ZN2at6native12_GLOBAL__N_122pdist_kernel_cuda_implIfNS1_5distsIfE3oneEEEvPT_PKS6_llS6_dd.has_recursion, 0
	.set _ZN2at6native12_GLOBAL__N_122pdist_kernel_cuda_implIfNS1_5distsIfE3oneEEEvPT_PKS6_llS6_dd.has_indirect_call, 0
	.section	.AMDGPU.csdata,"",@progbits
; Kernel info:
; codeLenInByte = 1144
; TotalNumSgprs: 30
; NumVgprs: 10
; ScratchSize: 0
; MemoryBound: 0
; FloatMode: 240
; IeeeMode: 1
; LDSByteSize: 1024 bytes/workgroup (compile time only)
; SGPRBlocks: 0
; VGPRBlocks: 1
; NumSGPRsForWavesPerEU: 30
; NumVGPRsForWavesPerEU: 10
; Occupancy: 16
; WaveLimiterHint : 0
; COMPUTE_PGM_RSRC2:SCRATCH_EN: 0
; COMPUTE_PGM_RSRC2:USER_SGPR: 2
; COMPUTE_PGM_RSRC2:TRAP_HANDLER: 0
; COMPUTE_PGM_RSRC2:TGID_X_EN: 1
; COMPUTE_PGM_RSRC2:TGID_Y_EN: 0
; COMPUTE_PGM_RSRC2:TGID_Z_EN: 0
; COMPUTE_PGM_RSRC2:TIDIG_COMP_CNT: 0
	.section	.text._ZN2at6native12_GLOBAL__N_122pdist_kernel_cuda_implIfNS1_5distsIfE3twoEEEvPT_PKS6_llS6_dd,"axG",@progbits,_ZN2at6native12_GLOBAL__N_122pdist_kernel_cuda_implIfNS1_5distsIfE3twoEEEvPT_PKS6_llS6_dd,comdat
	.globl	_ZN2at6native12_GLOBAL__N_122pdist_kernel_cuda_implIfNS1_5distsIfE3twoEEEvPT_PKS6_llS6_dd ; -- Begin function _ZN2at6native12_GLOBAL__N_122pdist_kernel_cuda_implIfNS1_5distsIfE3twoEEEvPT_PKS6_llS6_dd
	.p2align	8
	.type	_ZN2at6native12_GLOBAL__N_122pdist_kernel_cuda_implIfNS1_5distsIfE3twoEEEvPT_PKS6_llS6_dd,@function
_ZN2at6native12_GLOBAL__N_122pdist_kernel_cuda_implIfNS1_5distsIfE3twoEEEvPT_PKS6_llS6_dd: ; @_ZN2at6native12_GLOBAL__N_122pdist_kernel_cuda_implIfNS1_5distsIfE3twoEEEvPT_PKS6_llS6_dd
; %bb.0:
	s_clause 0x1
	s_load_b256 s[4:11], s[0:1], 0x0
	s_load_b32 s12, s[0:1], 0x44
	v_mov_b32_e32 v1, 0
	s_mov_b32 s2, ttmp9
	s_mov_b32 s3, 0
	s_mov_b32 s13, exec_lo
	s_wait_kmcnt 0x0
	v_cmpx_gt_i64_e64 s[10:11], v[0:1]
	s_cbranch_execz .LBB18_4
; %bb.1:
	s_lshl_b64 s[14:15], s[2:3], 1
	s_load_b128 s[16:19], s[0:1], 0x28
	v_cvt_f64_u32_e32 v[1:2], s15
	v_cvt_f64_u32_e32 v[3:4], s14
	s_mov_b32 s15, s3
	s_delay_alu instid0(VALU_DEP_2) | instskip(NEXT) | instid1(VALU_DEP_1)
	v_ldexp_f64 v[1:2], v[1:2], 32
	v_add_f64_e32 v[1:2], v[1:2], v[3:4]
	s_wait_kmcnt 0x0
	s_delay_alu instid0(VALU_DEP_1) | instskip(NEXT) | instid1(VALU_DEP_1)
	v_add_f64_e64 v[1:2], s[18:19], -v[1:2]
	v_cmp_gt_f64_e32 vcc_lo, 0x10000000, v[1:2]
	s_and_b32 s0, vcc_lo, exec_lo
	s_cselect_b32 s0, 0x100, 0
	s_delay_alu instid0(SALU_CYCLE_1) | instskip(SKIP_2) | instid1(VALU_DEP_1)
	v_ldexp_f64 v[1:2], v[1:2], s0
	s_cselect_b32 s0, 0xffffff80, 0
	s_lshl_b64 s[20:21], s[10:11], 2
	v_rsq_f64_e32 v[3:4], v[1:2]
	v_cmp_class_f64_e64 vcc_lo, v[1:2], 0x260
	s_delay_alu instid0(TRANS32_DEP_1) | instskip(SKIP_1) | instid1(VALU_DEP_1)
	v_mul_f64_e32 v[5:6], v[1:2], v[3:4]
	v_mul_f64_e32 v[3:4], 0.5, v[3:4]
	v_fma_f64 v[7:8], -v[3:4], v[5:6], 0.5
	s_delay_alu instid0(VALU_DEP_1) | instskip(SKIP_1) | instid1(VALU_DEP_2)
	v_fma_f64 v[5:6], v[5:6], v[7:8], v[5:6]
	v_fma_f64 v[3:4], v[3:4], v[7:8], v[3:4]
	v_fma_f64 v[7:8], -v[5:6], v[5:6], v[1:2]
	s_delay_alu instid0(VALU_DEP_1) | instskip(NEXT) | instid1(VALU_DEP_1)
	v_fma_f64 v[5:6], v[7:8], v[3:4], v[5:6]
	v_fma_f64 v[7:8], -v[5:6], v[5:6], v[1:2]
	s_delay_alu instid0(VALU_DEP_1) | instskip(SKIP_2) | instid1(VALU_DEP_2)
	v_fma_f64 v[3:4], v[7:8], v[3:4], v[5:6]
	v_lshlrev_b32_e32 v6, 2, v0
	s_wait_alu 0xfffe
	v_ldexp_f64 v[3:4], v[3:4], s0
	s_delay_alu instid0(VALU_DEP_1) | instskip(NEXT) | instid1(VALU_DEP_1)
	v_dual_cndmask_b32 v2, v4, v2 :: v_dual_cndmask_b32 v1, v3, v1
	v_add_f64_e64 v[1:2], s[16:17], -v[1:2]
	s_mov_b32 s17, s3
	s_delay_alu instid0(VALU_DEP_1) | instskip(NEXT) | instid1(VALU_DEP_1)
	v_trunc_f64_e32 v[1:2], v[1:2]
	v_ldexp_f64 v[3:4], v[1:2], 0xffffffe0
	s_delay_alu instid0(VALU_DEP_1) | instskip(NEXT) | instid1(VALU_DEP_1)
	v_floor_f64_e32 v[3:4], v[3:4]
	v_fma_f64 v[1:2], 0xc1f00000, v[3:4], v[1:2]
	v_cvt_i32_f64_e32 v3, v[3:4]
	s_delay_alu instid0(VALU_DEP_2) | instskip(NEXT) | instid1(VALU_DEP_2)
	v_cvt_u32_f64_e32 v2, v[1:2]
	v_readfirstlane_b32 s19, v3
	v_mov_b32_e32 v1, 0
	v_add_co_u32 v4, s0, s6, v6
	s_wait_alu 0xf1ff
	v_add_co_ci_u32_e64 v5, null, s7, 0, s0
	s_and_b32 s0, s12, 0xffff
	s_wait_alu 0xfffe
	s_lshl_b32 s1, s0, 2
	s_lshl_b32 s14, s0, 2
	v_readfirstlane_b32 s18, v2
	s_add_nc_u64 s[24:25], s[18:19], 1
	s_mul_u64 s[22:23], s[10:11], s[18:19]
	s_mul_u64 s[26:27], s[8:9], s[18:19]
	;; [unrolled: 1-line block ×3, first 2 shown]
	s_lshl_b64 s[8:9], s[22:23], 2
	s_wait_alu 0xfffe
	s_lshr_b32 s16, s19, 31
	s_add_nc_u64 s[22:23], s[24:25], s[2:3]
	s_wait_alu 0xfffe
	s_add_nc_u64 s[16:17], s[18:19], s[16:17]
	s_add_nc_u64 s[6:7], s[6:7], s[8:9]
	s_sub_nc_u64 s[18:19], s[22:23], s[26:27]
	s_wait_alu 0xfffe
	s_lshr_b64 s[16:17], s[16:17], 1
	v_add_co_u32 v2, s0, s6, v6
	s_wait_alu 0xfffe
	s_add_nc_u64 s[16:17], s[18:19], s[16:17]
	v_add_co_ci_u32_e64 v3, null, s7, 0, s0
	s_wait_alu 0xfffe
	s_mul_u64 s[10:11], s[10:11], s[16:17]
	s_add_nc_u64 s[6:7], s[6:7], s[20:21]
	s_wait_alu 0xfffe
	s_lshl_b64 s[10:11], s[10:11], 2
.LBB18_2:                               ; =>This Inner Loop Header: Depth=1
	v_add_co_u32 v6, vcc_lo, v4, s8
	s_wait_alu 0xfffd
	v_add_co_ci_u32_e64 v7, null, s9, v5, vcc_lo
	s_wait_alu 0xfffe
	v_add_co_u32 v8, vcc_lo, v4, s10
	s_wait_alu 0xfffd
	v_add_co_ci_u32_e64 v9, null, s11, v5, vcc_lo
	s_clause 0x1
	global_load_b32 v6, v[6:7], off
	global_load_b32 v7, v[8:9], off
	v_add_co_u32 v2, vcc_lo, v2, s14
	s_wait_alu 0xfffd
	v_add_co_ci_u32_e64 v3, null, 0, v3, vcc_lo
	v_add_co_u32 v4, s0, v4, s1
	s_wait_alu 0xf1ff
	v_add_co_ci_u32_e64 v5, null, 0, v5, s0
	s_delay_alu instid0(VALU_DEP_3) | instskip(SKIP_3) | instid1(VALU_DEP_1)
	v_cmp_le_u64_e32 vcc_lo, s[6:7], v[2:3]
	s_or_b32 s15, vcc_lo, s15
	s_wait_loadcnt 0x0
	v_sub_f32_e32 v6, v6, v7
	v_fmac_f32_e32 v1, v6, v6
	s_wait_alu 0xfffe
	s_and_not1_b32 exec_lo, exec_lo, s15
	s_cbranch_execnz .LBB18_2
; %bb.3:
	s_or_b32 exec_lo, exec_lo, s15
.LBB18_4:
	s_delay_alu instid0(SALU_CYCLE_1) | instskip(SKIP_4) | instid1(VALU_DEP_1)
	s_or_b32 exec_lo, exec_lo, s13
	v_mbcnt_lo_u32_b32 v5, -1, 0
	s_mov_b32 s0, exec_lo
	s_barrier_signal -1
	s_barrier_wait -1
	v_lshl_or_b32 v2, v5, 2, 64
	v_cmp_gt_u32_e32 vcc_lo, 24, v5
	global_inv scope:SCOPE_SE
	ds_bpermute_b32 v4, v2, v1
	s_wait_alu 0xfffd
	v_cndmask_b32_e64 v3, 0, 8, vcc_lo
	v_cmp_gt_u32_e32 vcc_lo, 28, v5
	s_delay_alu instid0(VALU_DEP_2)
	v_add_lshl_u32 v3, v3, v5, 2
	s_wait_dscnt 0x0
	v_add_f32_e32 v4, v1, v4
	s_wait_alu 0xfffd
	v_cndmask_b32_e64 v1, 0, 4, vcc_lo
	v_cmp_gt_u32_e32 vcc_lo, 30, v5
	ds_bpermute_b32 v6, v3, v4
	v_add_lshl_u32 v1, v1, v5, 2
	s_wait_dscnt 0x0
	v_add_f32_e32 v6, v4, v6
	s_wait_alu 0xfffd
	v_cndmask_b32_e64 v4, 0, 2, vcc_lo
	v_cmp_ne_u32_e32 vcc_lo, 31, v5
	ds_bpermute_b32 v7, v1, v6
	v_add_lshl_u32 v4, v4, v5, 2
	s_wait_alu 0xfffd
	v_add_co_ci_u32_e64 v5, null, 0, v5, vcc_lo
	s_wait_dscnt 0x0
	s_delay_alu instid0(VALU_DEP_1)
	v_dual_add_f32 v6, v6, v7 :: v_dual_lshlrev_b32 v5, 2, v5
	ds_bpermute_b32 v7, v4, v6
	s_wait_dscnt 0x0
	v_dual_add_f32 v6, v6, v7 :: v_dual_and_b32 v7, 31, v0
	ds_bpermute_b32 v8, v5, v6
	v_cmpx_eq_u32_e32 0, v7
	s_cbranch_execz .LBB18_6
; %bb.5:
	s_wait_dscnt 0x0
	v_add_f32_e32 v6, v6, v8
	v_lshrrev_b32_e32 v8, 3, v0
	ds_store_b32 v8, v6
.LBB18_6:
	s_wait_alu 0xfffe
	s_or_b32 exec_lo, exec_lo, s0
	s_and_b32 s0, 0xffff, s12
	v_mov_b32_e32 v6, 0
	s_wait_alu 0xfffe
	s_lshr_b32 s0, s0, 5
	s_wait_loadcnt_dscnt 0x0
	s_wait_alu 0xfffe
	v_cmp_gt_u32_e32 vcc_lo, s0, v0
	s_barrier_signal -1
	s_barrier_wait -1
	global_inv scope:SCOPE_SE
	s_and_saveexec_b32 s0, vcc_lo
; %bb.7:
	v_lshlrev_b32_e32 v6, 2, v7
	ds_load_b32 v6, v6
; %bb.8:
	s_wait_alu 0xfffe
	s_or_b32 exec_lo, exec_lo, s0
	s_delay_alu instid0(SALU_CYCLE_1)
	s_mov_b32 s0, exec_lo
	v_cmpx_gt_u32_e32 32, v0
	s_cbranch_execz .LBB18_10
; %bb.9:
	s_wait_dscnt 0x0
	ds_bpermute_b32 v2, v2, v6
	s_wait_dscnt 0x0
	v_add_f32_e32 v2, v6, v2
	ds_bpermute_b32 v3, v3, v2
	s_wait_dscnt 0x0
	v_add_f32_e32 v2, v2, v3
	ds_bpermute_b32 v1, v1, v2
	s_wait_dscnt 0x0
	v_add_f32_e32 v1, v2, v1
	ds_bpermute_b32 v2, v4, v1
	s_wait_dscnt 0x0
	v_add_f32_e32 v1, v1, v2
	ds_bpermute_b32 v2, v5, v1
	s_wait_dscnt 0x0
	v_add_f32_e32 v6, v1, v2
.LBB18_10:
	s_wait_alu 0xfffe
	s_or_b32 exec_lo, exec_lo, s0
	s_delay_alu instid0(SALU_CYCLE_1)
	s_mov_b32 s0, exec_lo
	v_cmpx_eq_u32_e32 0, v0
	s_cbranch_execz .LBB18_12
; %bb.11:
	s_wait_dscnt 0x0
	v_mul_f32_e32 v0, 0x4f800000, v6
	v_cmp_gt_f32_e32 vcc_lo, 0xf800000, v6
	s_wait_alu 0xfffd
	s_delay_alu instid0(VALU_DEP_2) | instskip(NEXT) | instid1(VALU_DEP_1)
	v_cndmask_b32_e32 v0, v6, v0, vcc_lo
	v_sqrt_f32_e32 v1, v0
	s_delay_alu instid0(TRANS32_DEP_1) | instskip(SKIP_1) | instid1(VALU_DEP_2)
	v_add_nc_u32_e32 v2, -1, v1
	v_add_nc_u32_e32 v3, 1, v1
	v_fma_f32 v4, -v2, v1, v0
	s_delay_alu instid0(VALU_DEP_2) | instskip(NEXT) | instid1(VALU_DEP_2)
	v_fma_f32 v5, -v3, v1, v0
	v_cmp_ge_f32_e64 s0, 0, v4
	s_wait_alu 0xf1fe
	s_delay_alu instid0(VALU_DEP_1) | instskip(NEXT) | instid1(VALU_DEP_3)
	v_cndmask_b32_e64 v1, v1, v2, s0
	v_cmp_lt_f32_e64 s0, 0, v5
	s_wait_alu 0xf1ff
	s_delay_alu instid0(VALU_DEP_1) | instskip(SKIP_3) | instid1(VALU_DEP_1)
	v_cndmask_b32_e64 v1, v1, v3, s0
	s_lshl_b64 s[0:1], s[2:3], 2
	s_wait_alu 0xfffe
	s_add_nc_u64 s[0:1], s[4:5], s[0:1]
	v_mul_f32_e32 v2, 0x37800000, v1
	s_delay_alu instid0(VALU_DEP_1) | instskip(SKIP_3) | instid1(VALU_DEP_3)
	v_cndmask_b32_e32 v1, v1, v2, vcc_lo
	v_cmp_class_f32_e64 vcc_lo, v0, 0x260
	v_mov_b32_e32 v2, 0
	s_wait_alu 0xfffd
	v_cndmask_b32_e32 v0, v1, v0, vcc_lo
	global_store_b32 v2, v0, s[0:1]
.LBB18_12:
	s_endpgm
	.section	.rodata,"a",@progbits
	.p2align	6, 0x0
	.amdhsa_kernel _ZN2at6native12_GLOBAL__N_122pdist_kernel_cuda_implIfNS1_5distsIfE3twoEEEvPT_PKS6_llS6_dd
		.amdhsa_group_segment_fixed_size 1024
		.amdhsa_private_segment_fixed_size 0
		.amdhsa_kernarg_size 312
		.amdhsa_user_sgpr_count 2
		.amdhsa_user_sgpr_dispatch_ptr 0
		.amdhsa_user_sgpr_queue_ptr 0
		.amdhsa_user_sgpr_kernarg_segment_ptr 1
		.amdhsa_user_sgpr_dispatch_id 0
		.amdhsa_user_sgpr_private_segment_size 0
		.amdhsa_wavefront_size32 1
		.amdhsa_uses_dynamic_stack 0
		.amdhsa_enable_private_segment 0
		.amdhsa_system_sgpr_workgroup_id_x 1
		.amdhsa_system_sgpr_workgroup_id_y 0
		.amdhsa_system_sgpr_workgroup_id_z 0
		.amdhsa_system_sgpr_workgroup_info 0
		.amdhsa_system_vgpr_workitem_id 0
		.amdhsa_next_free_vgpr 10
		.amdhsa_next_free_sgpr 28
		.amdhsa_reserve_vcc 1
		.amdhsa_float_round_mode_32 0
		.amdhsa_float_round_mode_16_64 0
		.amdhsa_float_denorm_mode_32 3
		.amdhsa_float_denorm_mode_16_64 3
		.amdhsa_fp16_overflow 0
		.amdhsa_workgroup_processor_mode 1
		.amdhsa_memory_ordered 1
		.amdhsa_forward_progress 1
		.amdhsa_inst_pref_size 11
		.amdhsa_round_robin_scheduling 0
		.amdhsa_exception_fp_ieee_invalid_op 0
		.amdhsa_exception_fp_denorm_src 0
		.amdhsa_exception_fp_ieee_div_zero 0
		.amdhsa_exception_fp_ieee_overflow 0
		.amdhsa_exception_fp_ieee_underflow 0
		.amdhsa_exception_fp_ieee_inexact 0
		.amdhsa_exception_int_div_zero 0
	.end_amdhsa_kernel
	.section	.text._ZN2at6native12_GLOBAL__N_122pdist_kernel_cuda_implIfNS1_5distsIfE3twoEEEvPT_PKS6_llS6_dd,"axG",@progbits,_ZN2at6native12_GLOBAL__N_122pdist_kernel_cuda_implIfNS1_5distsIfE3twoEEEvPT_PKS6_llS6_dd,comdat
.Lfunc_end18:
	.size	_ZN2at6native12_GLOBAL__N_122pdist_kernel_cuda_implIfNS1_5distsIfE3twoEEEvPT_PKS6_llS6_dd, .Lfunc_end18-_ZN2at6native12_GLOBAL__N_122pdist_kernel_cuda_implIfNS1_5distsIfE3twoEEEvPT_PKS6_llS6_dd
                                        ; -- End function
	.set _ZN2at6native12_GLOBAL__N_122pdist_kernel_cuda_implIfNS1_5distsIfE3twoEEEvPT_PKS6_llS6_dd.num_vgpr, 10
	.set _ZN2at6native12_GLOBAL__N_122pdist_kernel_cuda_implIfNS1_5distsIfE3twoEEEvPT_PKS6_llS6_dd.num_agpr, 0
	.set _ZN2at6native12_GLOBAL__N_122pdist_kernel_cuda_implIfNS1_5distsIfE3twoEEEvPT_PKS6_llS6_dd.numbered_sgpr, 28
	.set _ZN2at6native12_GLOBAL__N_122pdist_kernel_cuda_implIfNS1_5distsIfE3twoEEEvPT_PKS6_llS6_dd.num_named_barrier, 0
	.set _ZN2at6native12_GLOBAL__N_122pdist_kernel_cuda_implIfNS1_5distsIfE3twoEEEvPT_PKS6_llS6_dd.private_seg_size, 0
	.set _ZN2at6native12_GLOBAL__N_122pdist_kernel_cuda_implIfNS1_5distsIfE3twoEEEvPT_PKS6_llS6_dd.uses_vcc, 1
	.set _ZN2at6native12_GLOBAL__N_122pdist_kernel_cuda_implIfNS1_5distsIfE3twoEEEvPT_PKS6_llS6_dd.uses_flat_scratch, 0
	.set _ZN2at6native12_GLOBAL__N_122pdist_kernel_cuda_implIfNS1_5distsIfE3twoEEEvPT_PKS6_llS6_dd.has_dyn_sized_stack, 0
	.set _ZN2at6native12_GLOBAL__N_122pdist_kernel_cuda_implIfNS1_5distsIfE3twoEEEvPT_PKS6_llS6_dd.has_recursion, 0
	.set _ZN2at6native12_GLOBAL__N_122pdist_kernel_cuda_implIfNS1_5distsIfE3twoEEEvPT_PKS6_llS6_dd.has_indirect_call, 0
	.section	.AMDGPU.csdata,"",@progbits
; Kernel info:
; codeLenInByte = 1288
; TotalNumSgprs: 30
; NumVgprs: 10
; ScratchSize: 0
; MemoryBound: 0
; FloatMode: 240
; IeeeMode: 1
; LDSByteSize: 1024 bytes/workgroup (compile time only)
; SGPRBlocks: 0
; VGPRBlocks: 1
; NumSGPRsForWavesPerEU: 30
; NumVGPRsForWavesPerEU: 10
; Occupancy: 16
; WaveLimiterHint : 0
; COMPUTE_PGM_RSRC2:SCRATCH_EN: 0
; COMPUTE_PGM_RSRC2:USER_SGPR: 2
; COMPUTE_PGM_RSRC2:TRAP_HANDLER: 0
; COMPUTE_PGM_RSRC2:TGID_X_EN: 1
; COMPUTE_PGM_RSRC2:TGID_Y_EN: 0
; COMPUTE_PGM_RSRC2:TGID_Z_EN: 0
; COMPUTE_PGM_RSRC2:TIDIG_COMP_CNT: 0
	.section	.text._ZN2at6native12_GLOBAL__N_122pdist_kernel_cuda_implIfNS1_5distsIfE3infEEEvPT_PKS6_llS6_dd,"axG",@progbits,_ZN2at6native12_GLOBAL__N_122pdist_kernel_cuda_implIfNS1_5distsIfE3infEEEvPT_PKS6_llS6_dd,comdat
	.globl	_ZN2at6native12_GLOBAL__N_122pdist_kernel_cuda_implIfNS1_5distsIfE3infEEEvPT_PKS6_llS6_dd ; -- Begin function _ZN2at6native12_GLOBAL__N_122pdist_kernel_cuda_implIfNS1_5distsIfE3infEEEvPT_PKS6_llS6_dd
	.p2align	8
	.type	_ZN2at6native12_GLOBAL__N_122pdist_kernel_cuda_implIfNS1_5distsIfE3infEEEvPT_PKS6_llS6_dd,@function
_ZN2at6native12_GLOBAL__N_122pdist_kernel_cuda_implIfNS1_5distsIfE3infEEEvPT_PKS6_llS6_dd: ; @_ZN2at6native12_GLOBAL__N_122pdist_kernel_cuda_implIfNS1_5distsIfE3infEEEvPT_PKS6_llS6_dd
; %bb.0:
	s_clause 0x1
	s_load_b256 s[4:11], s[0:1], 0x0
	s_load_b32 s12, s[0:1], 0x44
	v_mov_b32_e32 v1, 0
	s_mov_b32 s2, ttmp9
	s_mov_b32 s3, 0
	s_mov_b32 s13, exec_lo
	s_wait_kmcnt 0x0
	v_cmpx_gt_i64_e64 s[10:11], v[0:1]
	s_cbranch_execz .LBB19_4
; %bb.1:
	s_lshl_b64 s[14:15], s[2:3], 1
	s_load_b128 s[16:19], s[0:1], 0x28
	v_cvt_f64_u32_e32 v[1:2], s15
	v_cvt_f64_u32_e32 v[3:4], s14
	s_mov_b32 s15, s3
	s_delay_alu instid0(VALU_DEP_2) | instskip(NEXT) | instid1(VALU_DEP_1)
	v_ldexp_f64 v[1:2], v[1:2], 32
	v_add_f64_e32 v[1:2], v[1:2], v[3:4]
	s_wait_kmcnt 0x0
	s_delay_alu instid0(VALU_DEP_1) | instskip(NEXT) | instid1(VALU_DEP_1)
	v_add_f64_e64 v[1:2], s[18:19], -v[1:2]
	v_cmp_gt_f64_e32 vcc_lo, 0x10000000, v[1:2]
	s_and_b32 s0, vcc_lo, exec_lo
	s_cselect_b32 s0, 0x100, 0
	s_delay_alu instid0(SALU_CYCLE_1) | instskip(SKIP_2) | instid1(VALU_DEP_1)
	v_ldexp_f64 v[1:2], v[1:2], s0
	s_cselect_b32 s0, 0xffffff80, 0
	s_lshl_b64 s[20:21], s[10:11], 2
	v_rsq_f64_e32 v[3:4], v[1:2]
	v_cmp_class_f64_e64 vcc_lo, v[1:2], 0x260
	s_delay_alu instid0(TRANS32_DEP_1) | instskip(SKIP_1) | instid1(VALU_DEP_1)
	v_mul_f64_e32 v[5:6], v[1:2], v[3:4]
	v_mul_f64_e32 v[3:4], 0.5, v[3:4]
	v_fma_f64 v[7:8], -v[3:4], v[5:6], 0.5
	s_delay_alu instid0(VALU_DEP_1) | instskip(SKIP_1) | instid1(VALU_DEP_2)
	v_fma_f64 v[5:6], v[5:6], v[7:8], v[5:6]
	v_fma_f64 v[3:4], v[3:4], v[7:8], v[3:4]
	v_fma_f64 v[7:8], -v[5:6], v[5:6], v[1:2]
	s_delay_alu instid0(VALU_DEP_1) | instskip(NEXT) | instid1(VALU_DEP_1)
	v_fma_f64 v[5:6], v[7:8], v[3:4], v[5:6]
	v_fma_f64 v[7:8], -v[5:6], v[5:6], v[1:2]
	s_delay_alu instid0(VALU_DEP_1) | instskip(SKIP_2) | instid1(VALU_DEP_2)
	v_fma_f64 v[3:4], v[7:8], v[3:4], v[5:6]
	v_lshlrev_b32_e32 v6, 2, v0
	s_wait_alu 0xfffe
	v_ldexp_f64 v[3:4], v[3:4], s0
	s_delay_alu instid0(VALU_DEP_1) | instskip(NEXT) | instid1(VALU_DEP_1)
	v_dual_cndmask_b32 v2, v4, v2 :: v_dual_cndmask_b32 v1, v3, v1
	v_add_f64_e64 v[1:2], s[16:17], -v[1:2]
	s_mov_b32 s17, s3
	s_delay_alu instid0(VALU_DEP_1) | instskip(NEXT) | instid1(VALU_DEP_1)
	v_trunc_f64_e32 v[1:2], v[1:2]
	v_ldexp_f64 v[3:4], v[1:2], 0xffffffe0
	s_delay_alu instid0(VALU_DEP_1) | instskip(NEXT) | instid1(VALU_DEP_1)
	v_floor_f64_e32 v[3:4], v[3:4]
	v_fma_f64 v[1:2], 0xc1f00000, v[3:4], v[1:2]
	v_cvt_i32_f64_e32 v3, v[3:4]
	s_delay_alu instid0(VALU_DEP_2) | instskip(NEXT) | instid1(VALU_DEP_2)
	v_cvt_u32_f64_e32 v2, v[1:2]
	v_readfirstlane_b32 s19, v3
	v_mov_b32_e32 v1, 0
	v_add_co_u32 v4, s0, s6, v6
	s_wait_alu 0xf1ff
	v_add_co_ci_u32_e64 v5, null, s7, 0, s0
	s_and_b32 s0, s12, 0xffff
	s_wait_alu 0xfffe
	s_lshl_b32 s1, s0, 2
	s_lshl_b32 s14, s0, 2
	v_readfirstlane_b32 s18, v2
	s_add_nc_u64 s[24:25], s[18:19], 1
	s_mul_u64 s[22:23], s[10:11], s[18:19]
	s_mul_u64 s[26:27], s[8:9], s[18:19]
	;; [unrolled: 1-line block ×3, first 2 shown]
	s_lshl_b64 s[8:9], s[22:23], 2
	s_wait_alu 0xfffe
	s_lshr_b32 s16, s19, 31
	s_add_nc_u64 s[22:23], s[24:25], s[2:3]
	s_wait_alu 0xfffe
	s_add_nc_u64 s[16:17], s[18:19], s[16:17]
	s_add_nc_u64 s[6:7], s[6:7], s[8:9]
	s_sub_nc_u64 s[18:19], s[22:23], s[26:27]
	s_wait_alu 0xfffe
	s_lshr_b64 s[16:17], s[16:17], 1
	v_add_co_u32 v2, s0, s6, v6
	s_wait_alu 0xfffe
	s_add_nc_u64 s[16:17], s[18:19], s[16:17]
	v_add_co_ci_u32_e64 v3, null, s7, 0, s0
	s_wait_alu 0xfffe
	s_mul_u64 s[10:11], s[10:11], s[16:17]
	s_add_nc_u64 s[6:7], s[6:7], s[20:21]
	s_wait_alu 0xfffe
	s_lshl_b64 s[10:11], s[10:11], 2
.LBB19_2:                               ; =>This Inner Loop Header: Depth=1
	v_add_co_u32 v6, vcc_lo, v4, s8
	s_wait_alu 0xfffd
	v_add_co_ci_u32_e64 v7, null, s9, v5, vcc_lo
	s_wait_alu 0xfffe
	v_add_co_u32 v8, vcc_lo, v4, s10
	s_wait_alu 0xfffd
	v_add_co_ci_u32_e64 v9, null, s11, v5, vcc_lo
	s_clause 0x1
	global_load_b32 v6, v[6:7], off
	global_load_b32 v7, v[8:9], off
	v_add_co_u32 v2, vcc_lo, v2, s14
	s_wait_alu 0xfffd
	v_add_co_ci_u32_e64 v3, null, 0, v3, vcc_lo
	v_add_co_u32 v4, vcc_lo, v4, s1
	s_wait_alu 0xfffd
	v_add_co_ci_u32_e64 v5, null, 0, v5, vcc_lo
	s_delay_alu instid0(VALU_DEP_3) | instskip(SKIP_3) | instid1(VALU_DEP_1)
	v_cmp_le_u64_e64 s0, s[6:7], v[2:3]
	s_or_b32 s15, s0, s15
	s_wait_loadcnt 0x0
	v_sub_f32_e32 v6, v6, v7
	v_cmp_gt_f32_e64 s16, |v6|, v1
	s_wait_alu 0xf1ff
	s_delay_alu instid0(VALU_DEP_1)
	v_cndmask_b32_e64 v1, v1, |v6|, s16
	s_wait_alu 0xfffe
	s_and_not1_b32 exec_lo, exec_lo, s15
	s_cbranch_execnz .LBB19_2
; %bb.3:
	s_or_b32 exec_lo, exec_lo, s15
.LBB19_4:
	s_delay_alu instid0(SALU_CYCLE_1) | instskip(SKIP_4) | instid1(VALU_DEP_1)
	s_or_b32 exec_lo, exec_lo, s13
	v_mbcnt_lo_u32_b32 v5, -1, 0
	s_mov_b32 s0, exec_lo
	s_barrier_signal -1
	s_barrier_wait -1
	v_lshl_or_b32 v2, v5, 2, 64
	v_cmp_gt_u32_e32 vcc_lo, 24, v5
	global_inv scope:SCOPE_SE
	ds_bpermute_b32 v4, v2, v1
	s_wait_alu 0xfffd
	v_cndmask_b32_e64 v3, 0, 8, vcc_lo
	s_delay_alu instid0(VALU_DEP_1)
	v_add_lshl_u32 v3, v3, v5, 2
	s_wait_dscnt 0x0
	v_cmp_lt_f32_e32 vcc_lo, v1, v4
	s_wait_alu 0xfffd
	v_cndmask_b32_e32 v4, v1, v4, vcc_lo
	v_cmp_gt_u32_e32 vcc_lo, 28, v5
	ds_bpermute_b32 v6, v3, v4
	s_wait_alu 0xfffd
	v_cndmask_b32_e64 v1, 0, 4, vcc_lo
	s_delay_alu instid0(VALU_DEP_1)
	v_add_lshl_u32 v1, v1, v5, 2
	s_wait_dscnt 0x0
	v_cmp_lt_f32_e32 vcc_lo, v4, v6
	s_wait_alu 0xfffd
	v_cndmask_b32_e32 v6, v4, v6, vcc_lo
	v_cmp_gt_u32_e32 vcc_lo, 30, v5
	ds_bpermute_b32 v7, v1, v6
	s_wait_alu 0xfffd
	v_cndmask_b32_e64 v4, 0, 2, vcc_lo
	s_delay_alu instid0(VALU_DEP_1)
	v_add_lshl_u32 v4, v4, v5, 2
	s_wait_dscnt 0x0
	v_cmp_lt_f32_e32 vcc_lo, v6, v7
	s_wait_alu 0xfffd
	v_cndmask_b32_e32 v6, v6, v7, vcc_lo
	v_cmp_ne_u32_e32 vcc_lo, 31, v5
	ds_bpermute_b32 v7, v4, v6
	s_wait_alu 0xfffd
	v_add_co_ci_u32_e64 v5, null, 0, v5, vcc_lo
	s_delay_alu instid0(VALU_DEP_1)
	v_lshlrev_b32_e32 v5, 2, v5
	s_wait_dscnt 0x0
	v_cmp_lt_f32_e32 vcc_lo, v6, v7
	s_wait_alu 0xfffd
	v_dual_cndmask_b32 v6, v6, v7 :: v_dual_and_b32 v7, 31, v0
	ds_bpermute_b32 v8, v5, v6
	v_cmpx_eq_u32_e32 0, v7
	s_cbranch_execz .LBB19_6
; %bb.5:
	s_wait_dscnt 0x0
	v_cmp_lt_f32_e32 vcc_lo, v6, v8
	s_wait_alu 0xfffd
	v_cndmask_b32_e32 v6, v6, v8, vcc_lo
	v_lshrrev_b32_e32 v8, 3, v0
	ds_store_b32 v8, v6
.LBB19_6:
	s_wait_alu 0xfffe
	s_or_b32 exec_lo, exec_lo, s0
	s_and_b32 s0, 0xffff, s12
	v_mov_b32_e32 v6, 0
	s_wait_alu 0xfffe
	s_lshr_b32 s0, s0, 5
	s_wait_loadcnt_dscnt 0x0
	s_wait_alu 0xfffe
	v_cmp_gt_u32_e32 vcc_lo, s0, v0
	s_barrier_signal -1
	s_barrier_wait -1
	global_inv scope:SCOPE_SE
	s_and_saveexec_b32 s0, vcc_lo
; %bb.7:
	v_lshlrev_b32_e32 v6, 2, v7
	ds_load_b32 v6, v6
; %bb.8:
	s_wait_alu 0xfffe
	s_or_b32 exec_lo, exec_lo, s0
	s_delay_alu instid0(SALU_CYCLE_1)
	s_mov_b32 s0, exec_lo
	v_cmpx_gt_u32_e32 32, v0
	s_cbranch_execz .LBB19_10
; %bb.9:
	s_wait_dscnt 0x0
	ds_bpermute_b32 v2, v2, v6
	s_wait_dscnt 0x0
	v_cmp_lt_f32_e32 vcc_lo, v6, v2
	s_wait_alu 0xfffd
	v_cndmask_b32_e32 v2, v6, v2, vcc_lo
	ds_bpermute_b32 v3, v3, v2
	s_wait_dscnt 0x0
	v_cmp_lt_f32_e32 vcc_lo, v2, v3
	s_wait_alu 0xfffd
	v_cndmask_b32_e32 v2, v2, v3, vcc_lo
	;; [unrolled: 5-line block ×5, first 2 shown]
.LBB19_10:
	s_wait_alu 0xfffe
	s_or_b32 exec_lo, exec_lo, s0
	s_delay_alu instid0(SALU_CYCLE_1)
	s_mov_b32 s0, exec_lo
	v_cmpx_eq_u32_e32 0, v0
	s_cbranch_execz .LBB19_12
; %bb.11:
	v_mov_b32_e32 v0, 0
	s_lshl_b64 s[0:1], s[2:3], 2
	s_wait_alu 0xfffe
	s_add_nc_u64 s[0:1], s[4:5], s[0:1]
	s_wait_dscnt 0x0
	global_store_b32 v0, v6, s[0:1]
.LBB19_12:
	s_endpgm
	.section	.rodata,"a",@progbits
	.p2align	6, 0x0
	.amdhsa_kernel _ZN2at6native12_GLOBAL__N_122pdist_kernel_cuda_implIfNS1_5distsIfE3infEEEvPT_PKS6_llS6_dd
		.amdhsa_group_segment_fixed_size 1024
		.amdhsa_private_segment_fixed_size 0
		.amdhsa_kernarg_size 312
		.amdhsa_user_sgpr_count 2
		.amdhsa_user_sgpr_dispatch_ptr 0
		.amdhsa_user_sgpr_queue_ptr 0
		.amdhsa_user_sgpr_kernarg_segment_ptr 1
		.amdhsa_user_sgpr_dispatch_id 0
		.amdhsa_user_sgpr_private_segment_size 0
		.amdhsa_wavefront_size32 1
		.amdhsa_uses_dynamic_stack 0
		.amdhsa_enable_private_segment 0
		.amdhsa_system_sgpr_workgroup_id_x 1
		.amdhsa_system_sgpr_workgroup_id_y 0
		.amdhsa_system_sgpr_workgroup_id_z 0
		.amdhsa_system_sgpr_workgroup_info 0
		.amdhsa_system_vgpr_workitem_id 0
		.amdhsa_next_free_vgpr 10
		.amdhsa_next_free_sgpr 28
		.amdhsa_reserve_vcc 1
		.amdhsa_float_round_mode_32 0
		.amdhsa_float_round_mode_16_64 0
		.amdhsa_float_denorm_mode_32 3
		.amdhsa_float_denorm_mode_16_64 3
		.amdhsa_fp16_overflow 0
		.amdhsa_workgroup_processor_mode 1
		.amdhsa_memory_ordered 1
		.amdhsa_forward_progress 1
		.amdhsa_inst_pref_size 10
		.amdhsa_round_robin_scheduling 0
		.amdhsa_exception_fp_ieee_invalid_op 0
		.amdhsa_exception_fp_denorm_src 0
		.amdhsa_exception_fp_ieee_div_zero 0
		.amdhsa_exception_fp_ieee_overflow 0
		.amdhsa_exception_fp_ieee_underflow 0
		.amdhsa_exception_fp_ieee_inexact 0
		.amdhsa_exception_int_div_zero 0
	.end_amdhsa_kernel
	.section	.text._ZN2at6native12_GLOBAL__N_122pdist_kernel_cuda_implIfNS1_5distsIfE3infEEEvPT_PKS6_llS6_dd,"axG",@progbits,_ZN2at6native12_GLOBAL__N_122pdist_kernel_cuda_implIfNS1_5distsIfE3infEEEvPT_PKS6_llS6_dd,comdat
.Lfunc_end19:
	.size	_ZN2at6native12_GLOBAL__N_122pdist_kernel_cuda_implIfNS1_5distsIfE3infEEEvPT_PKS6_llS6_dd, .Lfunc_end19-_ZN2at6native12_GLOBAL__N_122pdist_kernel_cuda_implIfNS1_5distsIfE3infEEEvPT_PKS6_llS6_dd
                                        ; -- End function
	.set _ZN2at6native12_GLOBAL__N_122pdist_kernel_cuda_implIfNS1_5distsIfE3infEEEvPT_PKS6_llS6_dd.num_vgpr, 10
	.set _ZN2at6native12_GLOBAL__N_122pdist_kernel_cuda_implIfNS1_5distsIfE3infEEEvPT_PKS6_llS6_dd.num_agpr, 0
	.set _ZN2at6native12_GLOBAL__N_122pdist_kernel_cuda_implIfNS1_5distsIfE3infEEEvPT_PKS6_llS6_dd.numbered_sgpr, 28
	.set _ZN2at6native12_GLOBAL__N_122pdist_kernel_cuda_implIfNS1_5distsIfE3infEEEvPT_PKS6_llS6_dd.num_named_barrier, 0
	.set _ZN2at6native12_GLOBAL__N_122pdist_kernel_cuda_implIfNS1_5distsIfE3infEEEvPT_PKS6_llS6_dd.private_seg_size, 0
	.set _ZN2at6native12_GLOBAL__N_122pdist_kernel_cuda_implIfNS1_5distsIfE3infEEEvPT_PKS6_llS6_dd.uses_vcc, 1
	.set _ZN2at6native12_GLOBAL__N_122pdist_kernel_cuda_implIfNS1_5distsIfE3infEEEvPT_PKS6_llS6_dd.uses_flat_scratch, 0
	.set _ZN2at6native12_GLOBAL__N_122pdist_kernel_cuda_implIfNS1_5distsIfE3infEEEvPT_PKS6_llS6_dd.has_dyn_sized_stack, 0
	.set _ZN2at6native12_GLOBAL__N_122pdist_kernel_cuda_implIfNS1_5distsIfE3infEEEvPT_PKS6_llS6_dd.has_recursion, 0
	.set _ZN2at6native12_GLOBAL__N_122pdist_kernel_cuda_implIfNS1_5distsIfE3infEEEvPT_PKS6_llS6_dd.has_indirect_call, 0
	.section	.AMDGPU.csdata,"",@progbits
; Kernel info:
; codeLenInByte = 1252
; TotalNumSgprs: 30
; NumVgprs: 10
; ScratchSize: 0
; MemoryBound: 0
; FloatMode: 240
; IeeeMode: 1
; LDSByteSize: 1024 bytes/workgroup (compile time only)
; SGPRBlocks: 0
; VGPRBlocks: 1
; NumSGPRsForWavesPerEU: 30
; NumVGPRsForWavesPerEU: 10
; Occupancy: 16
; WaveLimiterHint : 0
; COMPUTE_PGM_RSRC2:SCRATCH_EN: 0
; COMPUTE_PGM_RSRC2:USER_SGPR: 2
; COMPUTE_PGM_RSRC2:TRAP_HANDLER: 0
; COMPUTE_PGM_RSRC2:TGID_X_EN: 1
; COMPUTE_PGM_RSRC2:TGID_Y_EN: 0
; COMPUTE_PGM_RSRC2:TGID_Z_EN: 0
; COMPUTE_PGM_RSRC2:TIDIG_COMP_CNT: 0
	.section	.text._ZN2at6native12_GLOBAL__N_131pdist_backward_kernel_cuda_implIdNS1_5distsIdE1pEEEvPT_PKS6_S9_S9_llllS6_dd,"axG",@progbits,_ZN2at6native12_GLOBAL__N_131pdist_backward_kernel_cuda_implIdNS1_5distsIdE1pEEEvPT_PKS6_S9_S9_llllS6_dd,comdat
	.globl	_ZN2at6native12_GLOBAL__N_131pdist_backward_kernel_cuda_implIdNS1_5distsIdE1pEEEvPT_PKS6_S9_S9_llllS6_dd ; -- Begin function _ZN2at6native12_GLOBAL__N_131pdist_backward_kernel_cuda_implIdNS1_5distsIdE1pEEEvPT_PKS6_S9_S9_llllS6_dd
	.p2align	8
	.type	_ZN2at6native12_GLOBAL__N_131pdist_backward_kernel_cuda_implIdNS1_5distsIdE1pEEEvPT_PKS6_S9_S9_llllS6_dd,@function
_ZN2at6native12_GLOBAL__N_131pdist_backward_kernel_cuda_implIdNS1_5distsIdE1pEEEvPT_PKS6_S9_S9_llllS6_dd: ; @_ZN2at6native12_GLOBAL__N_131pdist_backward_kernel_cuda_implIdNS1_5distsIdE1pEEEvPT_PKS6_S9_S9_llllS6_dd
; %bb.0:
	s_clause 0x1
	s_load_b32 s2, s[0:1], 0x64
	s_load_b512 s[4:19], s[0:1], 0x0
	v_dual_mov_b32 v2, 0 :: v_dual_and_b32 v1, 0x3ff, v0
	s_wait_kmcnt 0x0
	s_and_b32 s3, s2, 0xffff
	s_delay_alu instid0(VALU_DEP_1) | instid1(SALU_CYCLE_1)
	v_mad_co_u64_u32 v[1:2], null, s3, ttmp9, v[1:2]
	s_mov_b32 s3, exec_lo
	v_cmpx_gt_i64_e64 s[18:19], v[1:2]
	s_cbranch_execz .LBB20_6
; %bb.1:
	v_bfe_u32 v0, v0, 10, 10
	s_lshr_b32 s33, s2, 16
	s_delay_alu instid0(VALU_DEP_1) | instid1(SALU_CYCLE_1)
	v_mad_co_u64_u32 v[3:4], null, ttmp7, s33, v[0:1]
	s_delay_alu instid0(VALU_DEP_1) | instskip(NEXT) | instid1(VALU_DEP_1)
	v_ashrrev_i32_e32 v4, 31, v3
	v_cmp_gt_i64_e32 vcc_lo, s[16:17], v[3:4]
	s_and_b32 exec_lo, exec_lo, vcc_lo
	s_cbranch_execz .LBB20_6
; %bb.2:
	v_lshlrev_b64_e32 v[5:6], 3, v[1:2]
	s_mov_b32 s18, 0x968915a9
	s_mov_b32 s24, 0x4222de17
	s_mov_b32 s19, 0x3fba6564
	s_mov_b32 s25, 0x3fbdee67
	s_mov_b32 s26, 0x3abe935a
	v_add_co_u32 v5, vcc_lo, s10, v5
	s_delay_alu instid0(VALU_DEP_1)
	v_add_co_ci_u32_e64 v6, null, s11, v6, vcc_lo
	s_mov_b32 s10, 0x55555555
	s_mov_b32 s11, 0x3fe55555
	;; [unrolled: 1-line block ×3, first 2 shown]
	global_load_b64 v[13:14], v[5:6], off
	s_clause 0x1
	s_load_b128 s[20:23], s[0:1], 0x40
	s_load_b64 s[2:3], s[0:1], 0x50
	s_mov_b32 s28, 0x47e6c9c2
	s_mov_b32 s29, 0x3fc110ef
	;; [unrolled: 1-line block ×18, first 2 shown]
	s_wait_kmcnt 0x0
	v_add_f64_e64 v[5:6], s[20:21], -1.0
	s_mov_b32 s48, 0x3b39803f
	s_mov_b32 s49, 0x3c7abc9e
	;; [unrolled: 1-line block ×28, first 2 shown]
	v_lshlrev_b64_e32 v[3:4], 3, v[3:4]
	s_wait_loadcnt 0x0
	v_cmp_neq_f64_e32 vcc_lo, 1.0, v[13:14]
	s_wait_alu 0xfffd
	s_delay_alu instid0(VALU_DEP_3) | instskip(NEXT) | instid1(VALU_DEP_4)
	v_cndmask_b32_e32 v10, 0x3ff00000, v6, vcc_lo
	v_cndmask_b32_e32 v9, 0, v5, vcc_lo
	s_delay_alu instid0(VALU_DEP_1) | instskip(SKIP_3) | instid1(VALU_DEP_1)
	v_cmp_neq_f64_e32 vcc_lo, 0, v[9:10]
	s_wait_alu 0xfffd
	v_cndmask_b32_e32 v12, 0x3ff00000, v14, vcc_lo
	v_cndmask_b32_e32 v11, 0, v13, vcc_lo
	v_frexp_mant_f64_e64 v[5:6], |v[11:12]|
	s_delay_alu instid0(VALU_DEP_1) | instskip(SKIP_2) | instid1(VALU_DEP_1)
	v_cmp_gt_f64_e32 vcc_lo, s[10:11], v[5:6]
	s_wait_alu 0xfffd
	v_cndmask_b32_e64 v0, 0, 1, vcc_lo
	v_ldexp_f64 v[5:6], v[5:6], v0
	v_frexp_exp_i32_f64_e32 v0, v[11:12]
	s_delay_alu instid0(VALU_DEP_2) | instskip(SKIP_1) | instid1(VALU_DEP_3)
	v_add_f64_e32 v[7:8], 1.0, v[5:6]
	v_add_f64_e32 v[19:20], -1.0, v[5:6]
	v_subrev_co_ci_u32_e64 v0, null, 0, v0, vcc_lo
	s_delay_alu instid0(VALU_DEP_3) | instskip(SKIP_1) | instid1(VALU_DEP_1)
	v_rcp_f64_e32 v[15:16], v[7:8]
	v_add_f64_e32 v[21:22], -1.0, v[7:8]
	v_add_f64_e64 v[5:6], v[5:6], -v[21:22]
	s_delay_alu instid0(TRANS32_DEP_1) | instskip(NEXT) | instid1(VALU_DEP_1)
	v_fma_f64 v[17:18], -v[7:8], v[15:16], 1.0
	v_fma_f64 v[15:16], v[17:18], v[15:16], v[15:16]
	s_delay_alu instid0(VALU_DEP_1) | instskip(NEXT) | instid1(VALU_DEP_1)
	v_fma_f64 v[17:18], -v[7:8], v[15:16], 1.0
	v_fma_f64 v[15:16], v[17:18], v[15:16], v[15:16]
	s_delay_alu instid0(VALU_DEP_1) | instskip(NEXT) | instid1(VALU_DEP_1)
	v_mul_f64_e32 v[17:18], v[19:20], v[15:16]
	v_mul_f64_e32 v[23:24], v[7:8], v[17:18]
	s_delay_alu instid0(VALU_DEP_1) | instskip(NEXT) | instid1(VALU_DEP_1)
	v_fma_f64 v[7:8], v[17:18], v[7:8], -v[23:24]
	v_fma_f64 v[5:6], v[17:18], v[5:6], v[7:8]
	s_delay_alu instid0(VALU_DEP_1) | instskip(NEXT) | instid1(VALU_DEP_1)
	v_add_f64_e32 v[7:8], v[23:24], v[5:6]
	v_add_f64_e64 v[21:22], v[19:20], -v[7:8]
	v_add_f64_e64 v[23:24], v[7:8], -v[23:24]
	s_delay_alu instid0(VALU_DEP_2) | instskip(NEXT) | instid1(VALU_DEP_2)
	v_add_f64_e64 v[19:20], v[19:20], -v[21:22]
	v_add_f64_e64 v[5:6], v[23:24], -v[5:6]
	s_delay_alu instid0(VALU_DEP_2) | instskip(NEXT) | instid1(VALU_DEP_1)
	v_add_f64_e64 v[7:8], v[19:20], -v[7:8]
	v_add_f64_e32 v[5:6], v[5:6], v[7:8]
	s_delay_alu instid0(VALU_DEP_1) | instskip(NEXT) | instid1(VALU_DEP_1)
	v_add_f64_e32 v[5:6], v[21:22], v[5:6]
	v_mul_f64_e32 v[5:6], v[15:16], v[5:6]
	s_delay_alu instid0(VALU_DEP_1) | instskip(NEXT) | instid1(VALU_DEP_1)
	v_add_f64_e32 v[7:8], v[17:18], v[5:6]
	v_add_f64_e64 v[15:16], v[7:8], -v[17:18]
	v_mul_f64_e32 v[17:18], v[7:8], v[7:8]
	s_delay_alu instid0(VALU_DEP_2) | instskip(NEXT) | instid1(VALU_DEP_2)
	v_add_f64_e64 v[5:6], v[5:6], -v[15:16]
	v_fma_f64 v[15:16], v[7:8], v[7:8], -v[17:18]
	s_delay_alu instid0(VALU_DEP_2) | instskip(NEXT) | instid1(VALU_DEP_1)
	v_add_f64_e32 v[19:20], v[5:6], v[5:6]
	v_fma_f64 v[15:16], v[7:8], v[19:20], v[15:16]
	s_delay_alu instid0(VALU_DEP_1) | instskip(NEXT) | instid1(VALU_DEP_1)
	v_add_f64_e32 v[19:20], v[17:18], v[15:16]
	v_fma_f64 v[21:22], v[19:20], s[24:25], s[18:19]
	v_add_f64_e64 v[17:18], v[19:20], -v[17:18]
	v_mul_f64_e32 v[27:28], v[7:8], v[19:20]
	s_delay_alu instid0(VALU_DEP_3) | instskip(NEXT) | instid1(VALU_DEP_3)
	v_fma_f64 v[21:22], v[19:20], v[21:22], s[26:27]
	v_add_f64_e64 v[15:16], v[15:16], -v[17:18]
	s_delay_alu instid0(VALU_DEP_2) | instskip(NEXT) | instid1(VALU_DEP_1)
	v_fma_f64 v[21:22], v[19:20], v[21:22], s[28:29]
	v_fma_f64 v[21:22], v[19:20], v[21:22], s[30:31]
	s_delay_alu instid0(VALU_DEP_1) | instskip(NEXT) | instid1(VALU_DEP_1)
	v_fma_f64 v[21:22], v[19:20], v[21:22], s[34:35]
	v_fma_f64 v[21:22], v[19:20], v[21:22], s[36:37]
	s_delay_alu instid0(VALU_DEP_1) | instskip(NEXT) | instid1(VALU_DEP_1)
	;; [unrolled: 3-line block ×3, first 2 shown]
	v_mul_f64_e32 v[23:24], v[19:20], v[21:22]
	v_fma_f64 v[17:18], v[19:20], v[21:22], -v[23:24]
	s_delay_alu instid0(VALU_DEP_1) | instskip(NEXT) | instid1(VALU_DEP_1)
	v_fma_f64 v[17:18], v[15:16], v[21:22], v[17:18]
	v_add_f64_e32 v[21:22], v[23:24], v[17:18]
	s_delay_alu instid0(VALU_DEP_1) | instskip(SKIP_1) | instid1(VALU_DEP_2)
	v_add_f64_e32 v[25:26], s[10:11], v[21:22]
	v_add_f64_e64 v[23:24], v[21:22], -v[23:24]
	v_add_f64_e32 v[29:30], s[42:43], v[25:26]
	s_delay_alu instid0(VALU_DEP_2) | instskip(SKIP_1) | instid1(VALU_DEP_3)
	v_add_f64_e64 v[17:18], v[17:18], -v[23:24]
	v_fma_f64 v[23:24], v[19:20], v[7:8], -v[27:28]
	v_add_f64_e64 v[21:22], v[21:22], -v[29:30]
	s_delay_alu instid0(VALU_DEP_3) | instskip(NEXT) | instid1(VALU_DEP_3)
	v_add_f64_e32 v[17:18], s[44:45], v[17:18]
	v_fma_f64 v[19:20], v[19:20], v[5:6], v[23:24]
	v_ldexp_f64 v[5:6], v[5:6], 1
	s_delay_alu instid0(VALU_DEP_3) | instskip(NEXT) | instid1(VALU_DEP_3)
	v_add_f64_e32 v[17:18], v[17:18], v[21:22]
	v_fma_f64 v[15:16], v[15:16], v[7:8], v[19:20]
	v_ldexp_f64 v[7:8], v[7:8], 1
	s_delay_alu instid0(VALU_DEP_3) | instskip(NEXT) | instid1(VALU_DEP_3)
	v_add_f64_e32 v[19:20], v[25:26], v[17:18]
	v_add_f64_e32 v[21:22], v[27:28], v[15:16]
	s_delay_alu instid0(VALU_DEP_2) | instskip(NEXT) | instid1(VALU_DEP_2)
	v_add_f64_e64 v[23:24], v[25:26], -v[19:20]
	v_mul_f64_e32 v[25:26], v[21:22], v[19:20]
	v_add_f64_e64 v[27:28], v[21:22], -v[27:28]
	s_delay_alu instid0(VALU_DEP_3) | instskip(NEXT) | instid1(VALU_DEP_3)
	v_add_f64_e32 v[17:18], v[17:18], v[23:24]
	v_fma_f64 v[23:24], v[21:22], v[19:20], -v[25:26]
	s_delay_alu instid0(VALU_DEP_3) | instskip(NEXT) | instid1(VALU_DEP_2)
	v_add_f64_e64 v[15:16], v[15:16], -v[27:28]
	v_fma_f64 v[17:18], v[21:22], v[17:18], v[23:24]
	s_delay_alu instid0(VALU_DEP_1) | instskip(SKIP_1) | instid1(VALU_DEP_2)
	v_fma_f64 v[15:16], v[15:16], v[19:20], v[17:18]
	v_cvt_f64_i32_e32 v[19:20], v0
	v_add_f64_e32 v[17:18], v[25:26], v[15:16]
	s_delay_alu instid0(VALU_DEP_1) | instskip(SKIP_1) | instid1(VALU_DEP_4)
	v_add_f64_e32 v[21:22], v[7:8], v[17:18]
	v_add_f64_e64 v[23:24], v[17:18], -v[25:26]
	v_mul_f64_e32 v[25:26], s[46:47], v[19:20]
	s_delay_alu instid0(VALU_DEP_3) | instskip(NEXT) | instid1(VALU_DEP_3)
	v_add_f64_e64 v[7:8], v[21:22], -v[7:8]
	v_add_f64_e64 v[15:16], v[15:16], -v[23:24]
	s_delay_alu instid0(VALU_DEP_3) | instskip(NEXT) | instid1(VALU_DEP_3)
	v_fma_f64 v[23:24], v[19:20], s[46:47], -v[25:26]
	v_add_f64_e64 v[7:8], v[17:18], -v[7:8]
	s_delay_alu instid0(VALU_DEP_3) | instskip(NEXT) | instid1(VALU_DEP_3)
	v_add_f64_e32 v[5:6], v[5:6], v[15:16]
	v_fma_f64 v[15:16], v[19:20], s[48:49], v[23:24]
	s_delay_alu instid0(VALU_DEP_2) | instskip(NEXT) | instid1(VALU_DEP_2)
	v_add_f64_e32 v[5:6], v[5:6], v[7:8]
	v_add_f64_e32 v[7:8], v[25:26], v[15:16]
	s_delay_alu instid0(VALU_DEP_2) | instskip(NEXT) | instid1(VALU_DEP_2)
	v_add_f64_e32 v[17:18], v[21:22], v[5:6]
	v_add_f64_e64 v[25:26], v[7:8], -v[25:26]
	s_delay_alu instid0(VALU_DEP_2) | instskip(SKIP_1) | instid1(VALU_DEP_3)
	v_add_f64_e32 v[19:20], v[7:8], v[17:18]
	v_add_f64_e64 v[21:22], v[17:18], -v[21:22]
	v_add_f64_e64 v[15:16], v[15:16], -v[25:26]
	s_delay_alu instid0(VALU_DEP_3) | instskip(NEXT) | instid1(VALU_DEP_3)
	v_add_f64_e64 v[23:24], v[19:20], -v[7:8]
	v_add_f64_e64 v[5:6], v[5:6], -v[21:22]
	s_delay_alu instid0(VALU_DEP_2) | instskip(SKIP_1) | instid1(VALU_DEP_3)
	v_add_f64_e64 v[27:28], v[19:20], -v[23:24]
	v_add_f64_e64 v[17:18], v[17:18], -v[23:24]
	v_add_f64_e32 v[21:22], v[15:16], v[5:6]
	s_delay_alu instid0(VALU_DEP_3) | instskip(NEXT) | instid1(VALU_DEP_1)
	v_add_f64_e64 v[7:8], v[7:8], -v[27:28]
	v_add_f64_e32 v[7:8], v[17:18], v[7:8]
	s_delay_alu instid0(VALU_DEP_3) | instskip(NEXT) | instid1(VALU_DEP_2)
	v_add_f64_e64 v[17:18], v[21:22], -v[15:16]
	v_add_f64_e32 v[7:8], v[21:22], v[7:8]
	s_delay_alu instid0(VALU_DEP_2) | instskip(SKIP_1) | instid1(VALU_DEP_3)
	v_add_f64_e64 v[21:22], v[21:22], -v[17:18]
	v_add_f64_e64 v[5:6], v[5:6], -v[17:18]
	v_add_f64_e32 v[23:24], v[19:20], v[7:8]
	s_delay_alu instid0(VALU_DEP_3) | instskip(NEXT) | instid1(VALU_DEP_2)
	v_add_f64_e64 v[15:16], v[15:16], -v[21:22]
	v_add_f64_e64 v[17:18], v[23:24], -v[19:20]
	s_delay_alu instid0(VALU_DEP_2) | instskip(NEXT) | instid1(VALU_DEP_2)
	v_add_f64_e32 v[5:6], v[5:6], v[15:16]
	v_add_f64_e64 v[7:8], v[7:8], -v[17:18]
	s_delay_alu instid0(VALU_DEP_1) | instskip(NEXT) | instid1(VALU_DEP_1)
	v_add_f64_e32 v[5:6], v[5:6], v[7:8]
	v_add_f64_e32 v[7:8], v[23:24], v[5:6]
	s_delay_alu instid0(VALU_DEP_1) | instskip(SKIP_1) | instid1(VALU_DEP_2)
	v_add_f64_e64 v[15:16], v[7:8], -v[23:24]
	v_mul_f64_e32 v[17:18], v[9:10], v[7:8]
	v_add_f64_e64 v[5:6], v[5:6], -v[15:16]
	s_delay_alu instid0(VALU_DEP_2) | instskip(SKIP_1) | instid1(VALU_DEP_2)
	v_fma_f64 v[7:8], v[9:10], v[7:8], -v[17:18]
	v_cmp_class_f64_e64 vcc_lo, v[17:18], 0x204
	v_fma_f64 v[7:8], v[9:10], v[5:6], v[7:8]
	v_lshlrev_b64_e32 v[5:6], 1, v[1:2]
	s_delay_alu instid0(VALU_DEP_1) | instskip(NEXT) | instid1(VALU_DEP_2)
	v_cvt_f64_u32_e32 v[15:16], v6
	v_cvt_f64_u32_e32 v[5:6], v5
	s_delay_alu instid0(VALU_DEP_4) | instskip(NEXT) | instid1(VALU_DEP_3)
	v_add_f64_e32 v[19:20], v[17:18], v[7:8]
	v_ldexp_f64 v[15:16], v[15:16], 32
	s_wait_alu 0xfffd
	s_delay_alu instid0(VALU_DEP_2) | instskip(SKIP_2) | instid1(VALU_DEP_4)
	v_dual_cndmask_b32 v22, v20, v18 :: v_dual_cndmask_b32 v21, v19, v17
	v_add_f64_e64 v[17:18], v[19:20], -v[17:18]
	v_mul_f64_e32 v[19:20], 0.5, v[9:10]
	v_add_f64_e32 v[5:6], v[15:16], v[5:6]
	s_delay_alu instid0(VALU_DEP_3) | instskip(NEXT) | instid1(VALU_DEP_2)
	v_add_f64_e64 v[7:8], v[7:8], -v[17:18]
	v_add_f64_e64 v[5:6], s[2:3], -v[5:6]
	s_delay_alu instid0(VALU_DEP_1) | instskip(SKIP_2) | instid1(VALU_DEP_1)
	v_cmp_gt_f64_e32 vcc_lo, 0x10000000, v[5:6]
	s_wait_alu 0xfffd
	v_cndmask_b32_e64 v0, 0, 0x100, vcc_lo
	v_ldexp_f64 v[5:6], v[5:6], v0
	v_cndmask_b32_e64 v0, 0, 0xffffff80, vcc_lo
	s_delay_alu instid0(VALU_DEP_2) | instskip(SKIP_1) | instid1(TRANS32_DEP_1)
	v_rsq_f64_e32 v[25:26], v[5:6]
	v_cmp_class_f64_e64 vcc_lo, v[5:6], 0x260
	v_mul_f64_e32 v[29:30], v[5:6], v[25:26]
	v_mul_f64_e32 v[25:26], 0.5, v[25:26]
	s_delay_alu instid0(VALU_DEP_1) | instskip(NEXT) | instid1(VALU_DEP_1)
	v_fma_f64 v[31:32], -v[25:26], v[29:30], 0.5
	v_fma_f64 v[29:30], v[29:30], v[31:32], v[29:30]
	v_fma_f64 v[25:26], v[25:26], v[31:32], v[25:26]
	s_delay_alu instid0(VALU_DEP_2) | instskip(NEXT) | instid1(VALU_DEP_1)
	v_fma_f64 v[31:32], -v[29:30], v[29:30], v[5:6]
	v_fma_f64 v[29:30], v[31:32], v[25:26], v[29:30]
	s_delay_alu instid0(VALU_DEP_1) | instskip(NEXT) | instid1(VALU_DEP_1)
	v_fma_f64 v[31:32], -v[29:30], v[29:30], v[5:6]
	v_fma_f64 v[25:26], v[31:32], v[25:26], v[29:30]
	v_mul_lo_u32 v29, v1, s13
	v_cmp_neq_f64_e64 s13, v[9:10], |v[9:10]|
	s_delay_alu instid0(VALU_DEP_3) | instskip(SKIP_2) | instid1(VALU_DEP_2)
	v_ldexp_f64 v[25:26], v[25:26], v0
	v_mul_lo_u32 v0, v2, s12
	s_wait_alu 0xfffd
	v_dual_cndmask_b32 v6, v26, v6 :: v_dual_cndmask_b32 v5, v25, v5
	s_delay_alu instid0(VALU_DEP_1) | instskip(SKIP_2) | instid1(VALU_DEP_2)
	v_add_f64_e64 v[25:26], s[22:23], -v[5:6]
	v_mad_co_u64_u32 v[5:6], null, v1, s12, 0
	v_cmp_lt_f64_e64 s22, |v[11:12]|, 1.0
	v_add3_u32 v6, v6, v29, v0
	s_delay_alu instid0(VALU_DEP_1) | instskip(NEXT) | instid1(VALU_DEP_1)
	v_lshlrev_b64_e32 v[5:6], 3, v[5:6]
	v_add_co_u32 v5, vcc_lo, s6, v5
	s_wait_alu 0xfffd
	s_delay_alu instid0(VALU_DEP_2)
	v_add_co_ci_u32_e64 v6, null, s7, v6, vcc_lo
	v_cmp_neq_f64_e64 vcc_lo, 0x7ff00000, |v[21:22]|
	s_add_nc_u64 s[6:7], s[0:1], 0x58
	global_load_b64 v[5:6], v[5:6], off
	s_load_b32 s0, s[6:7], 0x4
	s_lshl_b64 s[6:7], s[16:17], 3
	v_trunc_f64_e32 v[25:26], v[25:26]
	s_wait_kmcnt 0x0
	s_mul_i32 s12, s0, s33
	v_cmp_neq_f64_e64 s0, 0, v[13:14]
	v_cndmask_b32_e32 v8, 0, v8, vcc_lo
	v_mul_f64_e32 v[23:24], s[50:51], v[21:22]
	v_cmp_nlt_f64_e64 s2, 0x40900000, v[21:22]
	v_cmp_ngt_f64_e64 s3, 0xc090cc00, v[21:22]
	v_cndmask_b32_e32 v7, 0, v7, vcc_lo
	s_delay_alu instid0(VALU_DEP_4) | instskip(SKIP_1) | instid1(VALU_DEP_1)
	v_rndne_f64_e32 v[15:16], v[23:24]
	s_and_b32 vcc_lo, s3, s2
	v_fma_f64 v[23:24], v[15:16], s[52:53], v[21:22]
	v_cvt_i32_f64_e32 v0, v[15:16]
	v_trunc_f64_e32 v[21:22], v[19:20]
	s_delay_alu instid0(VALU_DEP_3) | instskip(NEXT) | instid1(VALU_DEP_1)
	v_fma_f64 v[23:24], v[15:16], s[54:55], v[23:24]
	v_fma_f64 v[27:28], v[23:24], s[58:59], s[56:57]
	s_delay_alu instid0(VALU_DEP_1) | instskip(NEXT) | instid1(VALU_DEP_1)
	v_fma_f64 v[27:28], v[23:24], v[27:28], s[60:61]
	v_fma_f64 v[27:28], v[23:24], v[27:28], s[62:63]
	s_delay_alu instid0(VALU_DEP_1) | instskip(NEXT) | instid1(VALU_DEP_1)
	;; [unrolled: 3-line block ×5, first 2 shown]
	v_fma_f64 v[27:28], v[23:24], v[27:28], 1.0
	v_fma_f64 v[15:16], v[23:24], v[27:28], 1.0
	v_ldexp_f64 v[23:24], v[25:26], 0xffffffe0
	s_delay_alu instid0(VALU_DEP_2) | instskip(NEXT) | instid1(VALU_DEP_2)
	v_ldexp_f64 v[15:16], v[15:16], v0
	v_floor_f64_e32 v[23:24], v[23:24]
	s_delay_alu instid0(VALU_DEP_2) | instskip(SKIP_1) | instid1(VALU_DEP_3)
	v_cndmask_b32_e64 v0, 0x7ff00000, v16, s2
	v_trunc_f64_e32 v[16:17], v[9:10]
	v_fma_f64 v[25:26], 0xc1f00000, v[23:24], v[25:26]
	s_wait_alu 0xfffe
	v_cndmask_b32_e32 v27, 0, v15, vcc_lo
	v_cmp_neq_f64_e64 s2, v[21:22], v[19:20]
	v_cndmask_b32_e64 v28, 0, v0, s3
	s_delay_alu instid0(VALU_DEP_1)
	v_fma_f64 v[7:8], v[27:28], v[7:8], v[27:28]
	v_cmp_class_f64_e64 s3, v[27:28], 0x204
	v_cmp_eq_f64_e32 vcc_lo, v[16:17], v[9:10]
	v_cvt_u32_f64_e32 v16, v[25:26]
	v_cvt_i32_f64_e32 v17, v[23:24]
	s_wait_alu 0xf1ff
	s_delay_alu instid0(VALU_DEP_4) | instskip(SKIP_3) | instid1(VALU_DEP_2)
	v_cndmask_b32_e64 v15, v7, v27, s3
	v_cndmask_b32_e64 v7, v8, v28, s3
	s_mov_b32 s3, 0
	s_and_b32 s1, vcc_lo, s2
	v_cndmask_b32_e32 v23, 0, v15, vcc_lo
	s_wait_alu 0xfffe
	v_cndmask_b32_e64 v0, 0x3ff00000, v12, s1
	v_cmp_gt_f64_e64 s2, 0, v[9:10]
	v_cndmask_b32_e64 v18, 0, v12, s1
	v_add_co_u32 v24, s1, v16, 1
	s_delay_alu instid0(VALU_DEP_4)
	v_bfi_b32 v0, 0x7fffffff, v7, v0
	s_wait_alu 0xf1ff
	v_add_co_ci_u32_e64 v25, null, 0, v17, s1
	v_cmp_neq_f64_e64 s1, |v[11:12]|, 1.0
	v_mul_lo_u32 v30, v24, v17
	v_cndmask_b32_e32 v22, 0x7ff80000, v0, vcc_lo
	v_cmp_gt_f64_e32 vcc_lo, 0, v[11:12]
	v_mul_lo_u32 v29, v25, v16
	v_mul_lo_u32 v28, s16, v17
	;; [unrolled: 1-line block ×5, first 2 shown]
	v_mad_co_u64_u32 v[20:21], null, s14, v16, 0
	v_add_f64_e64 v[7:8], s[20:21], -2.0
	v_cndmask_b32_e64 v13, 0x7ff00000, 0, s2
	s_xor_b32 s2, s13, s22
	s_ashr_i32 s13, s12, 31
	s_wait_alu 0xfffe
	v_cndmask_b32_e64 v14, 0x7ff00000, 0, s2
	v_bfi_b32 v27, 0x7fffffff, v13, v18
	v_mad_co_u64_u32 v[18:19], null, s16, v16, 0
	s_delay_alu instid0(VALU_DEP_3)
	v_cndmask_b32_e64 v26, 0x3ff00000, v14, s1
	v_cmp_class_f64_e64 s1, v[11:12], 0x204
	s_wait_alu 0xfffd
	v_dual_cndmask_b32 v23, v15, v23 :: v_dual_cndmask_b32 v0, v0, v22
	v_sub_co_u32 v15, vcc_lo, s14, v16
	s_wait_alu 0xfffd
	v_sub_co_ci_u32_e64 v22, null, s15, v17, vcc_lo
	v_cmp_class_f64_e64 vcc_lo, v[9:10], 0x204
	v_mad_co_u64_u32 v[13:14], null, v24, v16, 0
	v_add3_u32 v19, v19, v28, v32
	s_delay_alu instid0(VALU_DEP_2) | instskip(SKIP_2) | instid1(VALU_DEP_3)
	v_add3_u32 v14, v14, v30, v29
	v_add_co_u32 v30, s2, v15, -2
	v_add3_u32 v15, v21, v31, v33
	v_lshrrev_b32_e32 v29, 31, v14
	s_delay_alu instid0(VALU_DEP_3)
	v_mul_lo_u32 v21, v30, s15
	s_wait_alu 0xfffd
	v_cndmask_b32_e32 v26, v0, v26, vcc_lo
	s_wait_alu 0xf1ff
	v_add_co_ci_u32_e64 v0, null, -1, v22, s2
	v_add_co_u32 v13, s2, v13, v29
	s_wait_alu 0xf1ff
	v_add_co_ci_u32_e64 v14, null, 0, v14, s2
	v_sub_co_u32 v20, s2, v1, v20
	v_mul_lo_u32 v22, v0, s14
	s_delay_alu instid0(VALU_DEP_3) | instskip(SKIP_3) | instid1(VALU_DEP_3)
	v_ashrrev_i64 v[13:14], 1, v[13:14]
	s_wait_alu 0xf1ff
	v_sub_co_ci_u32_e64 v2, null, v2, v15, s2
	v_lshlrev_b64_e32 v[0:1], 3, v[18:19]
	v_add_co_u32 v13, s2, v13, v20
	s_wait_alu 0xf1ff
	s_delay_alu instid0(VALU_DEP_3) | instskip(NEXT) | instid1(VALU_DEP_3)
	v_add_co_ci_u32_e64 v14, null, v14, v2, s2
	v_add_co_u32 v2, s2, s8, v0
	s_wait_alu 0xf1ff
	v_add_co_ci_u32_e64 v15, null, s9, v1, s2
	v_add_co_u32 v0, s2, v24, v13
	v_cndmask_b32_e64 v20, v26, v27, s1
	s_or_b32 s1, s1, vcc_lo
	v_cmp_o_f64_e32 vcc_lo, v[11:12], v[9:10]
	v_add_co_ci_u32_e64 v1, null, v25, v14, s2
	v_mul_lo_u32 v18, v13, s15
	v_mul_lo_u32 v19, v14, s14
	v_mad_co_u64_u32 v[13:14], null, v13, s14, v[16:17]
	s_delay_alu instid0(VALU_DEP_4)
	v_mad_co_u64_u32 v[16:17], null, v30, s14, v[0:1]
	v_mul_lo_u32 v24, v1, s16
	v_mul_lo_u32 v25, v0, s17
	v_mad_co_u64_u32 v[9:10], null, v0, s16, 0
	v_add3_u32 v14, v19, v14, v18
	v_mul_lo_u32 v18, v13, s17
	v_add3_u32 v17, v22, v17, v21
	v_mad_co_u64_u32 v[11:12], null, v13, s16, 0
	s_delay_alu instid0(VALU_DEP_4)
	v_mul_lo_u32 v19, v14, s16
	v_mul_lo_u32 v21, s17, v16
	v_mad_co_u64_u32 v[13:14], null, s16, v16, 0
	v_mul_lo_u32 v22, s16, v17
	v_add3_u32 v10, v10, v25, v24
	s_wait_alu 0xfffe
	v_cndmask_b32_e64 v23, v23, 0, s1
	v_add_co_u32 v0, s1, v2, s6
	v_add3_u32 v12, v12, v18, v19
	v_lshlrev_b64_e32 v[16:17], 3, v[9:10]
	s_wait_alu 0xf1ff
	v_add_co_ci_u32_e64 v1, null, s7, v15, s1
	v_add3_u32 v14, v14, v22, v21
	v_lshlrev_b64_e32 v[11:12], 3, v[11:12]
	v_add_co_u32 v9, s1, v2, v3
	s_wait_alu 0xf1ff
	v_add_co_ci_u32_e64 v10, null, v15, v4, s1
	v_lshlrev_b64_e32 v[13:14], 3, v[13:14]
	v_add_co_u32 v16, s1, s8, v16
	s_wait_alu 0xf1ff
	v_add_co_ci_u32_e64 v17, null, s9, v17, s1
	v_add_co_u32 v18, s1, s4, v11
	s_wait_alu 0xf1ff
	v_add_co_ci_u32_e64 v19, null, s5, v12, s1
	s_wait_alu 0xfffd
	v_cndmask_b32_e32 v11, 0, v23, vcc_lo
	v_cndmask_b32_e32 v12, 0x7ff80000, v20, vcc_lo
	v_add_co_u32 v20, vcc_lo, s4, v13
	s_wait_alu 0xfffd
	v_add_co_ci_u32_e64 v21, null, s5, v14, vcc_lo
	s_lshl_b64 s[4:5], s[12:13], 3
	s_branch .LBB20_4
.LBB20_3:                               ;   in Loop: Header=BB20_4 Depth=1
	s_wait_alu 0xfffe
	s_or_b32 exec_lo, exec_lo, s6
	v_add_co_u32 v22, vcc_lo, v18, v3
	s_wait_alu 0xfffd
	v_add_co_ci_u32_e64 v23, null, v19, v4, vcc_lo
	v_add_co_u32 v9, vcc_lo, v9, s4
	s_wait_alu 0xfffd
	v_add_co_ci_u32_e64 v10, null, s5, v10, vcc_lo
	;; [unrolled: 3-line block ×3, first 2 shown]
	s_delay_alu instid0(VALU_DEP_3)
	v_cmp_ge_u64_e32 vcc_lo, v[9:10], v[0:1]
	v_add_co_u32 v3, s1, v3, s4
	global_store_b64 v[22:23], v[13:14], off
	v_xor_b32_e32 v14, 0x80000000, v14
	s_wait_alu 0xf1ff
	v_add_co_ci_u32_e64 v4, null, s5, v4, s1
	s_or_b32 s3, vcc_lo, s3
	global_store_b64 v[24:25], v[13:14], off
	s_wait_alu 0xfffe
	s_and_not1_b32 exec_lo, exec_lo, s3
	s_cbranch_execz .LBB20_6
.LBB20_4:                               ; =>This Inner Loop Header: Depth=1
	v_mov_b32_e32 v13, 0
	v_mov_b32_e32 v14, 0
	s_and_saveexec_b32 s6, s0
	s_cbranch_execz .LBB20_3
; %bb.5:                                ;   in Loop: Header=BB20_4 Depth=1
	v_add_co_u32 v13, vcc_lo, v2, v3
	s_wait_alu 0xfffd
	v_add_co_ci_u32_e64 v14, null, v15, v4, vcc_lo
	v_add_co_u32 v22, vcc_lo, v16, v3
	s_wait_alu 0xfffd
	v_add_co_ci_u32_e64 v23, null, v17, v4, vcc_lo
	s_clause 0x1
	global_load_b64 v[13:14], v[13:14], off
	global_load_b64 v[22:23], v[22:23], off
	s_mov_b32 s42, s10
	s_mov_b32 s52, s46
	;; [unrolled: 1-line block ×3, first 2 shown]
	s_wait_loadcnt 0x0
	v_add_f64_e64 v[13:14], v[13:14], -v[22:23]
	s_delay_alu instid0(VALU_DEP_1) | instskip(SKIP_3) | instid1(VALU_DEP_1)
	v_cmp_neq_f64_e64 vcc_lo, |v[13:14]|, 1.0
	s_wait_alu 0xfffd
	v_cndmask_b32_e32 v23, 0x3ff00000, v8, vcc_lo
	v_cndmask_b32_e32 v22, 0, v7, vcc_lo
	v_cmp_neq_f64_e32 vcc_lo, 0, v[22:23]
	s_wait_alu 0xfffd
	v_cndmask_b32_e32 v25, 0x3ff00000, v14, vcc_lo
	v_cndmask_b32_e32 v24, 0, v13, vcc_lo
	s_delay_alu instid0(VALU_DEP_1) | instskip(NEXT) | instid1(VALU_DEP_1)
	v_frexp_mant_f64_e64 v[26:27], |v[24:25]|
	v_cmp_gt_f64_e32 vcc_lo, s[10:11], v[26:27]
	s_wait_alu 0xfffd
	v_cndmask_b32_e64 v28, 0, 1, vcc_lo
	s_delay_alu instid0(VALU_DEP_1) | instskip(NEXT) | instid1(VALU_DEP_1)
	v_ldexp_f64 v[26:27], v[26:27], v28
	v_add_f64_e32 v[28:29], 1.0, v[26:27]
	v_add_f64_e32 v[34:35], -1.0, v[26:27]
	s_delay_alu instid0(VALU_DEP_2) | instskip(SKIP_1) | instid1(VALU_DEP_1)
	v_rcp_f64_e32 v[30:31], v[28:29]
	v_add_f64_e32 v[36:37], -1.0, v[28:29]
	v_add_f64_e64 v[26:27], v[26:27], -v[36:37]
	s_delay_alu instid0(TRANS32_DEP_1) | instskip(NEXT) | instid1(VALU_DEP_1)
	v_fma_f64 v[32:33], -v[28:29], v[30:31], 1.0
	v_fma_f64 v[30:31], v[32:33], v[30:31], v[30:31]
	s_delay_alu instid0(VALU_DEP_1) | instskip(NEXT) | instid1(VALU_DEP_1)
	v_fma_f64 v[32:33], -v[28:29], v[30:31], 1.0
	v_fma_f64 v[30:31], v[32:33], v[30:31], v[30:31]
	s_delay_alu instid0(VALU_DEP_1) | instskip(NEXT) | instid1(VALU_DEP_1)
	v_mul_f64_e32 v[32:33], v[34:35], v[30:31]
	v_mul_f64_e32 v[38:39], v[28:29], v[32:33]
	s_delay_alu instid0(VALU_DEP_1) | instskip(NEXT) | instid1(VALU_DEP_1)
	v_fma_f64 v[28:29], v[32:33], v[28:29], -v[38:39]
	v_fma_f64 v[26:27], v[32:33], v[26:27], v[28:29]
	s_delay_alu instid0(VALU_DEP_1) | instskip(NEXT) | instid1(VALU_DEP_1)
	v_add_f64_e32 v[28:29], v[38:39], v[26:27]
	v_add_f64_e64 v[36:37], v[34:35], -v[28:29]
	v_add_f64_e64 v[38:39], v[28:29], -v[38:39]
	s_delay_alu instid0(VALU_DEP_2) | instskip(NEXT) | instid1(VALU_DEP_2)
	v_add_f64_e64 v[34:35], v[34:35], -v[36:37]
	v_add_f64_e64 v[26:27], v[38:39], -v[26:27]
	s_delay_alu instid0(VALU_DEP_2) | instskip(NEXT) | instid1(VALU_DEP_1)
	v_add_f64_e64 v[28:29], v[34:35], -v[28:29]
	v_add_f64_e32 v[26:27], v[26:27], v[28:29]
	s_delay_alu instid0(VALU_DEP_1) | instskip(NEXT) | instid1(VALU_DEP_1)
	v_add_f64_e32 v[26:27], v[36:37], v[26:27]
	v_mul_f64_e32 v[26:27], v[30:31], v[26:27]
	s_delay_alu instid0(VALU_DEP_1) | instskip(NEXT) | instid1(VALU_DEP_1)
	v_add_f64_e32 v[28:29], v[32:33], v[26:27]
	v_add_f64_e64 v[30:31], v[28:29], -v[32:33]
	v_mul_f64_e32 v[32:33], v[28:29], v[28:29]
	s_delay_alu instid0(VALU_DEP_2) | instskip(NEXT) | instid1(VALU_DEP_2)
	v_add_f64_e64 v[26:27], v[26:27], -v[30:31]
	v_fma_f64 v[30:31], v[28:29], v[28:29], -v[32:33]
	s_delay_alu instid0(VALU_DEP_2) | instskip(NEXT) | instid1(VALU_DEP_1)
	v_add_f64_e32 v[34:35], v[26:27], v[26:27]
	v_fma_f64 v[30:31], v[28:29], v[34:35], v[30:31]
	s_delay_alu instid0(VALU_DEP_1) | instskip(NEXT) | instid1(VALU_DEP_1)
	v_add_f64_e32 v[34:35], v[32:33], v[30:31]
	v_fma_f64 v[36:37], v[34:35], s[24:25], s[18:19]
	v_add_f64_e64 v[32:33], v[34:35], -v[32:33]
	v_mul_f64_e32 v[42:43], v[28:29], v[34:35]
	s_delay_alu instid0(VALU_DEP_3) | instskip(NEXT) | instid1(VALU_DEP_3)
	v_fma_f64 v[36:37], v[34:35], v[36:37], s[26:27]
	v_add_f64_e64 v[30:31], v[30:31], -v[32:33]
	s_delay_alu instid0(VALU_DEP_2) | instskip(NEXT) | instid1(VALU_DEP_1)
	v_fma_f64 v[36:37], v[34:35], v[36:37], s[28:29]
	v_fma_f64 v[36:37], v[34:35], v[36:37], s[30:31]
	s_delay_alu instid0(VALU_DEP_1) | instskip(NEXT) | instid1(VALU_DEP_1)
	v_fma_f64 v[36:37], v[34:35], v[36:37], s[34:35]
	v_fma_f64 v[36:37], v[34:35], v[36:37], s[36:37]
	s_delay_alu instid0(VALU_DEP_1) | instskip(NEXT) | instid1(VALU_DEP_1)
	;; [unrolled: 3-line block ×3, first 2 shown]
	v_mul_f64_e32 v[38:39], v[34:35], v[36:37]
	v_fma_f64 v[32:33], v[34:35], v[36:37], -v[38:39]
	s_delay_alu instid0(VALU_DEP_1) | instskip(NEXT) | instid1(VALU_DEP_1)
	v_fma_f64 v[32:33], v[30:31], v[36:37], v[32:33]
	v_add_f64_e32 v[36:37], v[38:39], v[32:33]
	s_delay_alu instid0(VALU_DEP_1) | instskip(SKIP_2) | instid1(VALU_DEP_2)
	v_add_f64_e32 v[40:41], s[10:11], v[36:37]
	v_add_f64_e64 v[38:39], v[36:37], -v[38:39]
	s_wait_alu 0xfffe
	v_add_f64_e32 v[44:45], s[42:43], v[40:41]
	s_delay_alu instid0(VALU_DEP_2) | instskip(SKIP_1) | instid1(VALU_DEP_3)
	v_add_f64_e64 v[32:33], v[32:33], -v[38:39]
	v_fma_f64 v[38:39], v[34:35], v[28:29], -v[42:43]
	v_add_f64_e64 v[36:37], v[36:37], -v[44:45]
	s_delay_alu instid0(VALU_DEP_3) | instskip(NEXT) | instid1(VALU_DEP_3)
	v_add_f64_e32 v[32:33], s[44:45], v[32:33]
	v_fma_f64 v[34:35], v[34:35], v[26:27], v[38:39]
	v_ldexp_f64 v[26:27], v[26:27], 1
	s_delay_alu instid0(VALU_DEP_3) | instskip(NEXT) | instid1(VALU_DEP_3)
	v_add_f64_e32 v[32:33], v[32:33], v[36:37]
	v_fma_f64 v[30:31], v[30:31], v[28:29], v[34:35]
	v_ldexp_f64 v[28:29], v[28:29], 1
	s_delay_alu instid0(VALU_DEP_3) | instskip(NEXT) | instid1(VALU_DEP_3)
	v_add_f64_e32 v[34:35], v[40:41], v[32:33]
	v_add_f64_e32 v[36:37], v[42:43], v[30:31]
	s_delay_alu instid0(VALU_DEP_2) | instskip(NEXT) | instid1(VALU_DEP_2)
	v_add_f64_e64 v[38:39], v[40:41], -v[34:35]
	v_mul_f64_e32 v[40:41], v[36:37], v[34:35]
	v_add_f64_e64 v[42:43], v[36:37], -v[42:43]
	s_delay_alu instid0(VALU_DEP_3) | instskip(NEXT) | instid1(VALU_DEP_3)
	v_add_f64_e32 v[32:33], v[32:33], v[38:39]
	v_fma_f64 v[38:39], v[36:37], v[34:35], -v[40:41]
	s_delay_alu instid0(VALU_DEP_3) | instskip(NEXT) | instid1(VALU_DEP_2)
	v_add_f64_e64 v[30:31], v[30:31], -v[42:43]
	v_fma_f64 v[32:33], v[36:37], v[32:33], v[38:39]
	s_delay_alu instid0(VALU_DEP_1) | instskip(SKIP_1) | instid1(VALU_DEP_2)
	v_fma_f64 v[30:31], v[30:31], v[34:35], v[32:33]
	v_frexp_exp_i32_f64_e32 v34, v[24:25]
	v_add_f64_e32 v[32:33], v[40:41], v[30:31]
	s_delay_alu instid0(VALU_DEP_2) | instskip(NEXT) | instid1(VALU_DEP_1)
	v_subrev_co_ci_u32_e64 v34, null, 0, v34, vcc_lo
	v_cvt_f64_i32_e32 v[34:35], v34
	s_delay_alu instid0(VALU_DEP_3) | instskip(SKIP_1) | instid1(VALU_DEP_3)
	v_add_f64_e32 v[36:37], v[28:29], v[32:33]
	v_add_f64_e64 v[38:39], v[32:33], -v[40:41]
	v_mul_f64_e32 v[40:41], s[46:47], v[34:35]
	s_delay_alu instid0(VALU_DEP_3) | instskip(NEXT) | instid1(VALU_DEP_3)
	v_add_f64_e64 v[28:29], v[36:37], -v[28:29]
	v_add_f64_e64 v[30:31], v[30:31], -v[38:39]
	s_delay_alu instid0(VALU_DEP_3) | instskip(NEXT) | instid1(VALU_DEP_3)
	v_fma_f64 v[38:39], v[34:35], s[46:47], -v[40:41]
	v_add_f64_e64 v[28:29], v[32:33], -v[28:29]
	s_delay_alu instid0(VALU_DEP_3) | instskip(NEXT) | instid1(VALU_DEP_3)
	v_add_f64_e32 v[26:27], v[26:27], v[30:31]
	v_fma_f64 v[30:31], v[34:35], s[48:49], v[38:39]
	s_delay_alu instid0(VALU_DEP_2) | instskip(NEXT) | instid1(VALU_DEP_2)
	v_add_f64_e32 v[26:27], v[26:27], v[28:29]
	v_add_f64_e32 v[28:29], v[40:41], v[30:31]
	s_delay_alu instid0(VALU_DEP_2) | instskip(NEXT) | instid1(VALU_DEP_2)
	v_add_f64_e32 v[32:33], v[36:37], v[26:27]
	v_add_f64_e64 v[40:41], v[28:29], -v[40:41]
	s_delay_alu instid0(VALU_DEP_2) | instskip(SKIP_1) | instid1(VALU_DEP_3)
	v_add_f64_e32 v[34:35], v[28:29], v[32:33]
	v_add_f64_e64 v[36:37], v[32:33], -v[36:37]
	v_add_f64_e64 v[30:31], v[30:31], -v[40:41]
	s_delay_alu instid0(VALU_DEP_3) | instskip(NEXT) | instid1(VALU_DEP_3)
	v_add_f64_e64 v[38:39], v[34:35], -v[28:29]
	v_add_f64_e64 v[26:27], v[26:27], -v[36:37]
	s_delay_alu instid0(VALU_DEP_2) | instskip(SKIP_1) | instid1(VALU_DEP_3)
	v_add_f64_e64 v[42:43], v[34:35], -v[38:39]
	v_add_f64_e64 v[32:33], v[32:33], -v[38:39]
	v_add_f64_e32 v[36:37], v[30:31], v[26:27]
	s_delay_alu instid0(VALU_DEP_3) | instskip(NEXT) | instid1(VALU_DEP_1)
	v_add_f64_e64 v[28:29], v[28:29], -v[42:43]
	v_add_f64_e32 v[28:29], v[32:33], v[28:29]
	s_delay_alu instid0(VALU_DEP_3) | instskip(NEXT) | instid1(VALU_DEP_2)
	v_add_f64_e64 v[32:33], v[36:37], -v[30:31]
	v_add_f64_e32 v[28:29], v[36:37], v[28:29]
	s_delay_alu instid0(VALU_DEP_2) | instskip(SKIP_1) | instid1(VALU_DEP_3)
	v_add_f64_e64 v[36:37], v[36:37], -v[32:33]
	v_add_f64_e64 v[26:27], v[26:27], -v[32:33]
	v_add_f64_e32 v[38:39], v[34:35], v[28:29]
	s_delay_alu instid0(VALU_DEP_3) | instskip(NEXT) | instid1(VALU_DEP_2)
	v_add_f64_e64 v[30:31], v[30:31], -v[36:37]
	v_add_f64_e64 v[32:33], v[38:39], -v[34:35]
	s_delay_alu instid0(VALU_DEP_2) | instskip(NEXT) | instid1(VALU_DEP_2)
	v_add_f64_e32 v[26:27], v[26:27], v[30:31]
	v_add_f64_e64 v[28:29], v[28:29], -v[32:33]
	s_delay_alu instid0(VALU_DEP_1) | instskip(NEXT) | instid1(VALU_DEP_1)
	v_add_f64_e32 v[26:27], v[26:27], v[28:29]
	v_add_f64_e32 v[28:29], v[38:39], v[26:27]
	s_delay_alu instid0(VALU_DEP_1) | instskip(SKIP_1) | instid1(VALU_DEP_2)
	v_add_f64_e64 v[30:31], v[28:29], -v[38:39]
	v_mul_f64_e32 v[32:33], v[22:23], v[28:29]
	v_add_f64_e64 v[26:27], v[26:27], -v[30:31]
	s_delay_alu instid0(VALU_DEP_2) | instskip(SKIP_1) | instid1(VALU_DEP_2)
	v_fma_f64 v[28:29], v[22:23], v[28:29], -v[32:33]
	v_cmp_class_f64_e64 vcc_lo, v[32:33], 0x204
	v_fma_f64 v[26:27], v[22:23], v[26:27], v[28:29]
	s_delay_alu instid0(VALU_DEP_1) | instskip(SKIP_1) | instid1(VALU_DEP_1)
	v_add_f64_e32 v[28:29], v[32:33], v[26:27]
	s_wait_alu 0xfffd
	v_dual_cndmask_b32 v31, v29, v33 :: v_dual_cndmask_b32 v30, v28, v32
	v_add_f64_e64 v[28:29], v[28:29], -v[32:33]
	s_delay_alu instid0(VALU_DEP_2)
	v_mul_f64_e32 v[34:35], s[50:51], v[30:31]
	v_cmp_nlt_f64_e64 s1, 0x40900000, v[30:31]
	v_cmp_neq_f64_e64 vcc_lo, 0x7ff00000, |v[30:31]|
	v_cmp_ngt_f64_e64 s2, 0xc090cc00, v[30:31]
	v_add_f64_e64 v[26:27], v[26:27], -v[28:29]
	v_rndne_f64_e32 v[34:35], v[34:35]
	s_wait_alu 0xfffd
	s_delay_alu instid0(VALU_DEP_2) | instskip(SKIP_2) | instid1(VALU_DEP_3)
	v_dual_cndmask_b32 v27, 0, v27 :: v_dual_cndmask_b32 v26, 0, v26
	s_and_b32 vcc_lo, s2, s1
	v_cmp_eq_f64_e64 s7, |v[24:25]|, 0
	v_fma_f64 v[36:37], v[34:35], s[52:53], v[30:31]
	v_cvt_i32_f64_e32 v40, v[34:35]
	v_cmp_class_f64_e64 s8, v[24:25], 0x204
	s_delay_alu instid0(VALU_DEP_3) | instskip(NEXT) | instid1(VALU_DEP_1)
	v_fma_f64 v[36:37], v[34:35], s[54:55], v[36:37]
	v_fma_f64 v[38:39], v[36:37], s[58:59], s[56:57]
	s_delay_alu instid0(VALU_DEP_1) | instskip(NEXT) | instid1(VALU_DEP_1)
	v_fma_f64 v[38:39], v[36:37], v[38:39], s[60:61]
	v_fma_f64 v[38:39], v[36:37], v[38:39], s[62:63]
	s_delay_alu instid0(VALU_DEP_1) | instskip(NEXT) | instid1(VALU_DEP_1)
	;; [unrolled: 3-line block ×5, first 2 shown]
	v_fma_f64 v[38:39], v[36:37], v[38:39], 1.0
	v_fma_f64 v[34:35], v[36:37], v[38:39], 1.0
	s_delay_alu instid0(VALU_DEP_1) | instskip(NEXT) | instid1(VALU_DEP_1)
	v_ldexp_f64 v[32:33], v[34:35], v40
	v_cndmask_b32_e64 v28, 0x7ff00000, v33, s1
	v_cmp_neq_f64_e64 s1, v[22:23], |v[22:23]|
	s_delay_alu instid0(VALU_DEP_2) | instskip(SKIP_4) | instid1(VALU_DEP_2)
	v_cndmask_b32_e64 v29, 0, v28, s2
	v_cmp_lt_f64_e64 s2, |v[24:25]|, 1.0
	s_wait_alu 0xfffe
	v_cndmask_b32_e32 v28, 0, v32, vcc_lo
	v_cmp_gt_f64_e32 vcc_lo, 0, v[22:23]
	v_fma_f64 v[26:27], v[28:29], v[26:27], v[28:29]
	s_xor_b32 s1, s1, s2
	v_cmp_neq_f64_e64 s2, |v[24:25]|, 1.0
	s_wait_alu 0xfffe
	v_cndmask_b32_e64 v30, 0x7ff00000, 0, s1
	v_cmp_class_f64_e64 s1, v[28:29], 0x204
	s_xor_b32 s9, vcc_lo, s7
	s_or_b32 vcc_lo, s7, s8
	v_cndmask_b32_e64 v27, v27, v29, s1
	v_cndmask_b32_e64 v29, 0x3ff00000, v30, s2
	v_cmp_class_f64_e64 s2, v[22:23], 0x204
	s_wait_alu 0xfffe
	v_cndmask_b32_e64 v30, 0x7ff00000, 0, s9
	v_and_b32_e32 v27, 0x7fffffff, v27
	s_wait_alu 0xf1ff
	s_delay_alu instid0(VALU_DEP_1) | instskip(NEXT) | instid1(VALU_DEP_1)
	v_cndmask_b32_e64 v27, v27, v29, s2
	v_cndmask_b32_e32 v27, v27, v30, vcc_lo
	v_cndmask_b32_e64 v26, v26, v28, s1
	s_or_b32 s1, vcc_lo, s2
	v_cmp_o_f64_e64 vcc_lo, |v[24:25]|, v[22:23]
	s_wait_alu 0xfffe
	s_delay_alu instid0(VALU_DEP_2) | instskip(SKIP_1) | instid1(VALU_DEP_1)
	v_cndmask_b32_e64 v26, v26, 0, s1
	s_wait_alu 0xfffd
	v_cndmask_b32_e32 v22, 0, v26, vcc_lo
	v_cndmask_b32_e32 v23, 0x7ff80000, v27, vcc_lo
	s_delay_alu instid0(VALU_DEP_1) | instskip(NEXT) | instid1(VALU_DEP_1)
	v_mul_f64_e32 v[13:14], v[13:14], v[22:23]
	v_mul_f64_e32 v[13:14], v[5:6], v[13:14]
	s_delay_alu instid0(VALU_DEP_1) | instskip(NEXT) | instid1(VALU_DEP_1)
	v_div_scale_f64 v[22:23], null, v[11:12], v[11:12], v[13:14]
	v_rcp_f64_e32 v[24:25], v[22:23]
	s_delay_alu instid0(TRANS32_DEP_1) | instskip(NEXT) | instid1(VALU_DEP_1)
	v_fma_f64 v[26:27], -v[22:23], v[24:25], 1.0
	v_fma_f64 v[24:25], v[24:25], v[26:27], v[24:25]
	s_delay_alu instid0(VALU_DEP_1) | instskip(NEXT) | instid1(VALU_DEP_1)
	v_fma_f64 v[26:27], -v[22:23], v[24:25], 1.0
	v_fma_f64 v[24:25], v[24:25], v[26:27], v[24:25]
	v_div_scale_f64 v[26:27], vcc_lo, v[13:14], v[11:12], v[13:14]
	s_delay_alu instid0(VALU_DEP_1) | instskip(NEXT) | instid1(VALU_DEP_1)
	v_mul_f64_e32 v[28:29], v[26:27], v[24:25]
	v_fma_f64 v[22:23], -v[22:23], v[28:29], v[26:27]
	s_wait_alu 0xfffd
	s_delay_alu instid0(VALU_DEP_1) | instskip(NEXT) | instid1(VALU_DEP_1)
	v_div_fmas_f64 v[22:23], v[22:23], v[24:25], v[28:29]
	v_div_fixup_f64 v[13:14], v[22:23], v[11:12], v[13:14]
	s_branch .LBB20_3
.LBB20_6:
	s_endpgm
	.section	.rodata,"a",@progbits
	.p2align	6, 0x0
	.amdhsa_kernel _ZN2at6native12_GLOBAL__N_131pdist_backward_kernel_cuda_implIdNS1_5distsIdE1pEEEvPT_PKS6_S9_S9_llllS6_dd
		.amdhsa_group_segment_fixed_size 0
		.amdhsa_private_segment_fixed_size 0
		.amdhsa_kernarg_size 344
		.amdhsa_user_sgpr_count 2
		.amdhsa_user_sgpr_dispatch_ptr 0
		.amdhsa_user_sgpr_queue_ptr 0
		.amdhsa_user_sgpr_kernarg_segment_ptr 1
		.amdhsa_user_sgpr_dispatch_id 0
		.amdhsa_user_sgpr_private_segment_size 0
		.amdhsa_wavefront_size32 1
		.amdhsa_uses_dynamic_stack 0
		.amdhsa_enable_private_segment 0
		.amdhsa_system_sgpr_workgroup_id_x 1
		.amdhsa_system_sgpr_workgroup_id_y 1
		.amdhsa_system_sgpr_workgroup_id_z 0
		.amdhsa_system_sgpr_workgroup_info 0
		.amdhsa_system_vgpr_workitem_id 1
		.amdhsa_next_free_vgpr 46
		.amdhsa_next_free_sgpr 76
		.amdhsa_reserve_vcc 1
		.amdhsa_float_round_mode_32 0
		.amdhsa_float_round_mode_16_64 0
		.amdhsa_float_denorm_mode_32 3
		.amdhsa_float_denorm_mode_16_64 3
		.amdhsa_fp16_overflow 0
		.amdhsa_workgroup_processor_mode 1
		.amdhsa_memory_ordered 1
		.amdhsa_forward_progress 1
		.amdhsa_inst_pref_size 40
		.amdhsa_round_robin_scheduling 0
		.amdhsa_exception_fp_ieee_invalid_op 0
		.amdhsa_exception_fp_denorm_src 0
		.amdhsa_exception_fp_ieee_div_zero 0
		.amdhsa_exception_fp_ieee_overflow 0
		.amdhsa_exception_fp_ieee_underflow 0
		.amdhsa_exception_fp_ieee_inexact 0
		.amdhsa_exception_int_div_zero 0
	.end_amdhsa_kernel
	.section	.text._ZN2at6native12_GLOBAL__N_131pdist_backward_kernel_cuda_implIdNS1_5distsIdE1pEEEvPT_PKS6_S9_S9_llllS6_dd,"axG",@progbits,_ZN2at6native12_GLOBAL__N_131pdist_backward_kernel_cuda_implIdNS1_5distsIdE1pEEEvPT_PKS6_S9_S9_llllS6_dd,comdat
.Lfunc_end20:
	.size	_ZN2at6native12_GLOBAL__N_131pdist_backward_kernel_cuda_implIdNS1_5distsIdE1pEEEvPT_PKS6_S9_S9_llllS6_dd, .Lfunc_end20-_ZN2at6native12_GLOBAL__N_131pdist_backward_kernel_cuda_implIdNS1_5distsIdE1pEEEvPT_PKS6_S9_S9_llllS6_dd
                                        ; -- End function
	.set _ZN2at6native12_GLOBAL__N_131pdist_backward_kernel_cuda_implIdNS1_5distsIdE1pEEEvPT_PKS6_S9_S9_llllS6_dd.num_vgpr, 46
	.set _ZN2at6native12_GLOBAL__N_131pdist_backward_kernel_cuda_implIdNS1_5distsIdE1pEEEvPT_PKS6_S9_S9_llllS6_dd.num_agpr, 0
	.set _ZN2at6native12_GLOBAL__N_131pdist_backward_kernel_cuda_implIdNS1_5distsIdE1pEEEvPT_PKS6_S9_S9_llllS6_dd.numbered_sgpr, 76
	.set _ZN2at6native12_GLOBAL__N_131pdist_backward_kernel_cuda_implIdNS1_5distsIdE1pEEEvPT_PKS6_S9_S9_llllS6_dd.num_named_barrier, 0
	.set _ZN2at6native12_GLOBAL__N_131pdist_backward_kernel_cuda_implIdNS1_5distsIdE1pEEEvPT_PKS6_S9_S9_llllS6_dd.private_seg_size, 0
	.set _ZN2at6native12_GLOBAL__N_131pdist_backward_kernel_cuda_implIdNS1_5distsIdE1pEEEvPT_PKS6_S9_S9_llllS6_dd.uses_vcc, 1
	.set _ZN2at6native12_GLOBAL__N_131pdist_backward_kernel_cuda_implIdNS1_5distsIdE1pEEEvPT_PKS6_S9_S9_llllS6_dd.uses_flat_scratch, 0
	.set _ZN2at6native12_GLOBAL__N_131pdist_backward_kernel_cuda_implIdNS1_5distsIdE1pEEEvPT_PKS6_S9_S9_llllS6_dd.has_dyn_sized_stack, 0
	.set _ZN2at6native12_GLOBAL__N_131pdist_backward_kernel_cuda_implIdNS1_5distsIdE1pEEEvPT_PKS6_S9_S9_llllS6_dd.has_recursion, 0
	.set _ZN2at6native12_GLOBAL__N_131pdist_backward_kernel_cuda_implIdNS1_5distsIdE1pEEEvPT_PKS6_S9_S9_llllS6_dd.has_indirect_call, 0
	.section	.AMDGPU.csdata,"",@progbits
; Kernel info:
; codeLenInByte = 5020
; TotalNumSgprs: 78
; NumVgprs: 46
; ScratchSize: 0
; MemoryBound: 0
; FloatMode: 240
; IeeeMode: 1
; LDSByteSize: 0 bytes/workgroup (compile time only)
; SGPRBlocks: 0
; VGPRBlocks: 5
; NumSGPRsForWavesPerEU: 78
; NumVGPRsForWavesPerEU: 46
; Occupancy: 16
; WaveLimiterHint : 0
; COMPUTE_PGM_RSRC2:SCRATCH_EN: 0
; COMPUTE_PGM_RSRC2:USER_SGPR: 2
; COMPUTE_PGM_RSRC2:TRAP_HANDLER: 0
; COMPUTE_PGM_RSRC2:TGID_X_EN: 1
; COMPUTE_PGM_RSRC2:TGID_Y_EN: 1
; COMPUTE_PGM_RSRC2:TGID_Z_EN: 0
; COMPUTE_PGM_RSRC2:TIDIG_COMP_CNT: 1
	.section	.text._ZN2at6native12_GLOBAL__N_131pdist_backward_kernel_cuda_implIdNS1_5distsIdE3oneEEEvPT_PKS6_S9_S9_llllS6_dd,"axG",@progbits,_ZN2at6native12_GLOBAL__N_131pdist_backward_kernel_cuda_implIdNS1_5distsIdE3oneEEEvPT_PKS6_S9_S9_llllS6_dd,comdat
	.globl	_ZN2at6native12_GLOBAL__N_131pdist_backward_kernel_cuda_implIdNS1_5distsIdE3oneEEEvPT_PKS6_S9_S9_llllS6_dd ; -- Begin function _ZN2at6native12_GLOBAL__N_131pdist_backward_kernel_cuda_implIdNS1_5distsIdE3oneEEEvPT_PKS6_S9_S9_llllS6_dd
	.p2align	8
	.type	_ZN2at6native12_GLOBAL__N_131pdist_backward_kernel_cuda_implIdNS1_5distsIdE3oneEEEvPT_PKS6_S9_S9_llllS6_dd,@function
_ZN2at6native12_GLOBAL__N_131pdist_backward_kernel_cuda_implIdNS1_5distsIdE3oneEEEvPT_PKS6_S9_S9_llllS6_dd: ; @_ZN2at6native12_GLOBAL__N_131pdist_backward_kernel_cuda_implIdNS1_5distsIdE3oneEEEvPT_PKS6_S9_S9_llllS6_dd
; %bb.0:
	s_clause 0x1
	s_load_b32 s2, s[0:1], 0x64
	s_load_b256 s[4:11], s[0:1], 0x20
	v_dual_mov_b32 v2, 0 :: v_dual_and_b32 v1, 0x3ff, v0
	s_wait_kmcnt 0x0
	s_and_b32 s3, s2, 0xffff
	s_delay_alu instid0(VALU_DEP_1) | instid1(SALU_CYCLE_1)
	v_mad_co_u64_u32 v[4:5], null, s3, ttmp9, v[1:2]
	s_mov_b32 s3, exec_lo
	v_cmpx_gt_i64_e64 s[10:11], v[4:5]
	s_cbranch_execz .LBB21_4
; %bb.1:
	v_bfe_u32 v0, v0, 10, 10
	s_lshr_b32 s10, s2, 16
	s_wait_alu 0xfffe
	s_delay_alu instid0(VALU_DEP_1) | instskip(NEXT) | instid1(VALU_DEP_1)
	v_mad_co_u64_u32 v[2:3], null, ttmp7, s10, v[0:1]
	v_ashrrev_i32_e32 v3, 31, v2
	s_delay_alu instid0(VALU_DEP_1)
	v_cmp_gt_i64_e32 vcc_lo, s[8:9], v[2:3]
	s_and_b32 exec_lo, exec_lo, vcc_lo
	s_cbranch_execz .LBB21_4
; %bb.2:
	v_lshlrev_b64_e32 v[0:1], 1, v[4:5]
	s_clause 0x2
	s_load_b128 s[16:19], s[0:1], 0x48
	s_load_b128 s[12:15], s[0:1], 0x0
	s_load_b64 s[2:3], s[0:1], 0x10
	s_add_nc_u64 s[0:1], s[0:1], 0x58
	v_lshlrev_b64_e32 v[2:3], 3, v[2:3]
	v_cvt_f64_u32_e32 v[6:7], v1
	v_cvt_f64_u32_e32 v[0:1], v0
	s_delay_alu instid0(VALU_DEP_2) | instskip(NEXT) | instid1(VALU_DEP_1)
	v_ldexp_f64 v[6:7], v[6:7], 32
	v_add_f64_e32 v[0:1], v[6:7], v[0:1]
	s_wait_kmcnt 0x0
	s_delay_alu instid0(VALU_DEP_1) | instskip(NEXT) | instid1(VALU_DEP_1)
	v_add_f64_e64 v[0:1], s[18:19], -v[0:1]
	v_cmp_gt_f64_e32 vcc_lo, 0x10000000, v[0:1]
	v_cndmask_b32_e64 v6, 0, 0x100, vcc_lo
	s_delay_alu instid0(VALU_DEP_1) | instskip(NEXT) | instid1(VALU_DEP_1)
	v_ldexp_f64 v[0:1], v[0:1], v6
	v_rsq_f64_e32 v[6:7], v[0:1]
	s_delay_alu instid0(TRANS32_DEP_1) | instskip(SKIP_1) | instid1(VALU_DEP_1)
	v_mul_f64_e32 v[8:9], v[0:1], v[6:7]
	v_mul_f64_e32 v[6:7], 0.5, v[6:7]
	v_fma_f64 v[10:11], -v[6:7], v[8:9], 0.5
	s_delay_alu instid0(VALU_DEP_1) | instskip(SKIP_1) | instid1(VALU_DEP_2)
	v_fma_f64 v[8:9], v[8:9], v[10:11], v[8:9]
	v_fma_f64 v[6:7], v[6:7], v[10:11], v[6:7]
	v_fma_f64 v[10:11], -v[8:9], v[8:9], v[0:1]
	s_delay_alu instid0(VALU_DEP_1) | instskip(NEXT) | instid1(VALU_DEP_1)
	v_fma_f64 v[8:9], v[10:11], v[6:7], v[8:9]
	v_fma_f64 v[10:11], -v[8:9], v[8:9], v[0:1]
	s_delay_alu instid0(VALU_DEP_1) | instskip(SKIP_4) | instid1(VALU_DEP_4)
	v_fma_f64 v[6:7], v[10:11], v[6:7], v[8:9]
	v_cndmask_b32_e64 v8, 0, 0xffffff80, vcc_lo
	v_cmp_class_f64_e64 vcc_lo, v[0:1], 0x260
	v_mul_lo_u32 v10, v5, s4
	v_mul_lo_u32 v11, v4, s5
	v_ldexp_f64 v[6:7], v[6:7], v8
	v_mad_co_u64_u32 v[8:9], null, v4, s4, 0
	s_load_b32 s4, s[0:1], 0x4
	s_lshl_b64 s[0:1], s[8:9], 3
	v_add3_u32 v9, v9, v11, v10
	s_wait_kmcnt 0x0
	s_mul_i32 s4, s4, s10
	s_wait_alu 0xfffe
	s_ashr_i32 s5, s4, 31
	v_dual_cndmask_b32 v1, v7, v1 :: v_dual_cndmask_b32 v0, v6, v0
	s_delay_alu instid0(VALU_DEP_1) | instskip(SKIP_1) | instid1(VALU_DEP_1)
	v_add_f64_e64 v[6:7], s[16:17], -v[0:1]
	v_lshlrev_b64_e32 v[0:1], 3, v[8:9]
	v_add_co_u32 v0, vcc_lo, s14, v0
	s_wait_alu 0xfffd
	s_delay_alu instid0(VALU_DEP_2) | instskip(SKIP_2) | instid1(VALU_DEP_1)
	v_add_co_ci_u32_e64 v1, null, s15, v1, vcc_lo
	global_load_b64 v[0:1], v[0:1], off
	v_trunc_f64_e32 v[6:7], v[6:7]
	v_ldexp_f64 v[8:9], v[6:7], 0xffffffe0
	s_delay_alu instid0(VALU_DEP_1) | instskip(NEXT) | instid1(VALU_DEP_1)
	v_floor_f64_e32 v[8:9], v[8:9]
	v_fma_f64 v[6:7], 0xc1f00000, v[8:9], v[6:7]
	s_delay_alu instid0(VALU_DEP_1) | instskip(SKIP_1) | instid1(VALU_DEP_2)
	v_cvt_u32_f64_e32 v6, v[6:7]
	v_cvt_i32_f64_e32 v7, v[8:9]
	v_add_co_u32 v15, vcc_lo, v6, 1
	s_wait_alu 0xfffd
	s_delay_alu instid0(VALU_DEP_2) | instskip(SKIP_1) | instid1(VALU_DEP_3)
	v_add_co_ci_u32_e64 v16, null, 0, v7, vcc_lo
	v_mul_lo_u32 v17, s8, v7
	v_mad_co_u64_u32 v[8:9], null, v15, v6, 0
	s_delay_alu instid0(VALU_DEP_3)
	v_mul_lo_u32 v10, v16, v6
	v_mul_lo_u32 v11, v15, v7
	;; [unrolled: 1-line block ×5, first 2 shown]
	v_sub_co_u32 v21, vcc_lo, s6, v6
	s_wait_alu 0xfffd
	v_sub_co_ci_u32_e64 v22, null, s7, v7, vcc_lo
	v_add3_u32 v14, v9, v11, v10
	v_mad_co_u64_u32 v[9:10], null, s8, v6, 0
	v_mad_co_u64_u32 v[11:12], null, s6, v6, 0
	s_delay_alu instid0(VALU_DEP_3) | instskip(NEXT) | instid1(VALU_DEP_3)
	v_lshrrev_b32_e32 v13, 31, v14
	v_add3_u32 v10, v10, v17, v19
	s_delay_alu instid0(VALU_DEP_2) | instskip(SKIP_4) | instid1(VALU_DEP_3)
	v_add_co_u32 v13, vcc_lo, v8, v13
	s_wait_alu 0xfffd
	v_add_co_ci_u32_e64 v14, null, 0, v14, vcc_lo
	v_add3_u32 v17, v12, v18, v20
	v_add_co_u32 v21, vcc_lo, v21, -2
	v_ashrrev_i64 v[12:13], 1, v[13:14]
	s_wait_alu 0xfffd
	v_add_co_ci_u32_e64 v8, null, -1, v22, vcc_lo
	v_sub_co_u32 v4, vcc_lo, v4, v11
	s_wait_alu 0xfffd
	v_sub_co_ci_u32_e64 v5, null, v5, v17, vcc_lo
	s_delay_alu instid0(VALU_DEP_3) | instskip(NEXT) | instid1(VALU_DEP_3)
	v_mul_lo_u32 v17, v8, s6
	v_add_co_u32 v8, vcc_lo, v12, v4
	s_wait_alu 0xfffd
	s_delay_alu instid0(VALU_DEP_3) | instskip(SKIP_1) | instid1(VALU_DEP_3)
	v_add_co_ci_u32_e64 v12, null, v13, v5, vcc_lo
	v_lshlrev_b64_e32 v[4:5], 3, v[9:10]
	v_add_co_u32 v10, vcc_lo, v15, v8
	s_wait_alu 0xfffd
	s_delay_alu instid0(VALU_DEP_3)
	v_add_co_ci_u32_e64 v11, null, v16, v12, vcc_lo
	v_mul_lo_u32 v14, v8, s7
	v_mul_lo_u32 v15, v12, s6
	v_mad_co_u64_u32 v[6:7], null, v8, s6, v[6:7]
	v_mul_lo_u32 v18, v21, s7
	v_mad_co_u64_u32 v[12:13], null, v21, s6, v[10:11]
	v_mul_lo_u32 v16, v11, s8
	v_mul_lo_u32 v19, v10, s9
	v_mad_co_u64_u32 v[10:11], null, v10, s8, 0
	v_add3_u32 v7, v15, v7, v14
	v_mul_lo_u32 v20, v6, s9
	v_mad_co_u64_u32 v[14:15], null, v6, s8, 0
	v_add_co_u32 v8, vcc_lo, s2, v4
	s_delay_alu instid0(VALU_DEP_4) | instskip(SKIP_4) | instid1(VALU_DEP_4)
	v_mul_lo_u32 v6, v7, s8
	v_add3_u32 v7, v17, v13, v18
	v_add3_u32 v11, v11, v19, v16
	v_mul_lo_u32 v16, s9, v12
	v_mad_co_u64_u32 v[12:13], null, s8, v12, 0
	v_mul_lo_u32 v17, s8, v7
	s_wait_alu 0xfffd
	v_add_co_ci_u32_e64 v9, null, s3, v5, vcc_lo
	v_add3_u32 v15, v15, v20, v6
	v_lshlrev_b64_e32 v[10:11], 3, v[10:11]
	v_add_co_u32 v4, vcc_lo, v8, s0
	s_wait_alu 0xfffd
	v_add_co_ci_u32_e64 v5, null, s1, v9, vcc_lo
	v_add3_u32 v13, v13, v17, v16
	v_lshlrev_b64_e32 v[14:15], 3, v[14:15]
	v_add_co_u32 v6, vcc_lo, v8, v2
	s_wait_alu 0xfffd
	v_add_co_ci_u32_e64 v7, null, v9, v3, vcc_lo
	v_lshlrev_b64_e32 v[16:17], 3, v[12:13]
	v_add_co_u32 v10, vcc_lo, s2, v10
	s_wait_alu 0xfffd
	v_add_co_ci_u32_e64 v11, null, s3, v11, vcc_lo
	v_add_co_u32 v12, vcc_lo, s12, v14
	s_wait_alu 0xfffd
	v_add_co_ci_u32_e64 v13, null, s13, v15, vcc_lo
	;; [unrolled: 3-line block ×3, first 2 shown]
	s_mov_b32 s1, 0
	s_wait_alu 0xfffe
	s_lshl_b64 s[2:3], s[4:5], 3
.LBB21_3:                               ; =>This Inner Loop Header: Depth=1
	v_add_co_u32 v16, vcc_lo, v8, v2
	s_wait_alu 0xfffd
	v_add_co_ci_u32_e64 v17, null, v9, v3, vcc_lo
	v_add_co_u32 v18, vcc_lo, v10, v2
	s_wait_alu 0xfffd
	v_add_co_ci_u32_e64 v19, null, v11, v3, vcc_lo
	s_clause 0x1
	global_load_b64 v[16:17], v[16:17], off
	global_load_b64 v[18:19], v[18:19], off
	s_wait_loadcnt 0x0
	v_add_f64_e64 v[16:17], v[16:17], -v[18:19]
	s_delay_alu instid0(VALU_DEP_1) | instskip(SKIP_4) | instid1(VALU_DEP_2)
	v_cmp_lt_f64_e32 vcc_lo, 0, v[16:17]
	s_wait_alu 0xfffd
	v_cndmask_b32_e64 v18, 0, 1, vcc_lo
	v_cmp_gt_f64_e32 vcc_lo, 0, v[16:17]
	s_wait_alu 0xfffd
	v_subrev_co_ci_u32_e64 v16, null, 0, v18, vcc_lo
	v_add_co_u32 v18, vcc_lo, v12, v2
	s_wait_alu 0xfffd
	v_add_co_ci_u32_e64 v19, null, v13, v3, vcc_lo
	s_delay_alu instid0(VALU_DEP_3)
	v_cvt_f64_i32_e32 v[16:17], v16
	s_wait_alu 0xfffe
	v_add_co_u32 v6, vcc_lo, v6, s2
	s_wait_alu 0xfffd
	v_add_co_ci_u32_e64 v7, null, s3, v7, vcc_lo
	v_add_co_u32 v20, vcc_lo, v14, v2
	s_wait_alu 0xfffd
	v_add_co_ci_u32_e64 v21, null, v15, v3, vcc_lo
	s_delay_alu instid0(VALU_DEP_3)
	v_cmp_ge_u64_e64 s0, v[6:7], v[4:5]
	v_add_co_u32 v2, vcc_lo, v2, s2
	s_wait_alu 0xfffd
	v_add_co_ci_u32_e64 v3, null, s3, v3, vcc_lo
	s_or_b32 s1, s0, s1
	v_mul_f64_e32 v[16:17], v[0:1], v[16:17]
	global_store_b64 v[18:19], v[16:17], off
	v_xor_b32_e32 v17, 0x80000000, v17
	global_store_b64 v[20:21], v[16:17], off
	s_wait_alu 0xfffe
	s_and_not1_b32 exec_lo, exec_lo, s1
	s_cbranch_execnz .LBB21_3
.LBB21_4:
	s_endpgm
	.section	.rodata,"a",@progbits
	.p2align	6, 0x0
	.amdhsa_kernel _ZN2at6native12_GLOBAL__N_131pdist_backward_kernel_cuda_implIdNS1_5distsIdE3oneEEEvPT_PKS6_S9_S9_llllS6_dd
		.amdhsa_group_segment_fixed_size 0
		.amdhsa_private_segment_fixed_size 0
		.amdhsa_kernarg_size 344
		.amdhsa_user_sgpr_count 2
		.amdhsa_user_sgpr_dispatch_ptr 0
		.amdhsa_user_sgpr_queue_ptr 0
		.amdhsa_user_sgpr_kernarg_segment_ptr 1
		.amdhsa_user_sgpr_dispatch_id 0
		.amdhsa_user_sgpr_private_segment_size 0
		.amdhsa_wavefront_size32 1
		.amdhsa_uses_dynamic_stack 0
		.amdhsa_enable_private_segment 0
		.amdhsa_system_sgpr_workgroup_id_x 1
		.amdhsa_system_sgpr_workgroup_id_y 1
		.amdhsa_system_sgpr_workgroup_id_z 0
		.amdhsa_system_sgpr_workgroup_info 0
		.amdhsa_system_vgpr_workitem_id 1
		.amdhsa_next_free_vgpr 23
		.amdhsa_next_free_sgpr 20
		.amdhsa_reserve_vcc 1
		.amdhsa_float_round_mode_32 0
		.amdhsa_float_round_mode_16_64 0
		.amdhsa_float_denorm_mode_32 3
		.amdhsa_float_denorm_mode_16_64 3
		.amdhsa_fp16_overflow 0
		.amdhsa_workgroup_processor_mode 1
		.amdhsa_memory_ordered 1
		.amdhsa_forward_progress 1
		.amdhsa_inst_pref_size 11
		.amdhsa_round_robin_scheduling 0
		.amdhsa_exception_fp_ieee_invalid_op 0
		.amdhsa_exception_fp_denorm_src 0
		.amdhsa_exception_fp_ieee_div_zero 0
		.amdhsa_exception_fp_ieee_overflow 0
		.amdhsa_exception_fp_ieee_underflow 0
		.amdhsa_exception_fp_ieee_inexact 0
		.amdhsa_exception_int_div_zero 0
	.end_amdhsa_kernel
	.section	.text._ZN2at6native12_GLOBAL__N_131pdist_backward_kernel_cuda_implIdNS1_5distsIdE3oneEEEvPT_PKS6_S9_S9_llllS6_dd,"axG",@progbits,_ZN2at6native12_GLOBAL__N_131pdist_backward_kernel_cuda_implIdNS1_5distsIdE3oneEEEvPT_PKS6_S9_S9_llllS6_dd,comdat
.Lfunc_end21:
	.size	_ZN2at6native12_GLOBAL__N_131pdist_backward_kernel_cuda_implIdNS1_5distsIdE3oneEEEvPT_PKS6_S9_S9_llllS6_dd, .Lfunc_end21-_ZN2at6native12_GLOBAL__N_131pdist_backward_kernel_cuda_implIdNS1_5distsIdE3oneEEEvPT_PKS6_S9_S9_llllS6_dd
                                        ; -- End function
	.set _ZN2at6native12_GLOBAL__N_131pdist_backward_kernel_cuda_implIdNS1_5distsIdE3oneEEEvPT_PKS6_S9_S9_llllS6_dd.num_vgpr, 23
	.set _ZN2at6native12_GLOBAL__N_131pdist_backward_kernel_cuda_implIdNS1_5distsIdE3oneEEEvPT_PKS6_S9_S9_llllS6_dd.num_agpr, 0
	.set _ZN2at6native12_GLOBAL__N_131pdist_backward_kernel_cuda_implIdNS1_5distsIdE3oneEEEvPT_PKS6_S9_S9_llllS6_dd.numbered_sgpr, 20
	.set _ZN2at6native12_GLOBAL__N_131pdist_backward_kernel_cuda_implIdNS1_5distsIdE3oneEEEvPT_PKS6_S9_S9_llllS6_dd.num_named_barrier, 0
	.set _ZN2at6native12_GLOBAL__N_131pdist_backward_kernel_cuda_implIdNS1_5distsIdE3oneEEEvPT_PKS6_S9_S9_llllS6_dd.private_seg_size, 0
	.set _ZN2at6native12_GLOBAL__N_131pdist_backward_kernel_cuda_implIdNS1_5distsIdE3oneEEEvPT_PKS6_S9_S9_llllS6_dd.uses_vcc, 1
	.set _ZN2at6native12_GLOBAL__N_131pdist_backward_kernel_cuda_implIdNS1_5distsIdE3oneEEEvPT_PKS6_S9_S9_llllS6_dd.uses_flat_scratch, 0
	.set _ZN2at6native12_GLOBAL__N_131pdist_backward_kernel_cuda_implIdNS1_5distsIdE3oneEEEvPT_PKS6_S9_S9_llllS6_dd.has_dyn_sized_stack, 0
	.set _ZN2at6native12_GLOBAL__N_131pdist_backward_kernel_cuda_implIdNS1_5distsIdE3oneEEEvPT_PKS6_S9_S9_llllS6_dd.has_recursion, 0
	.set _ZN2at6native12_GLOBAL__N_131pdist_backward_kernel_cuda_implIdNS1_5distsIdE3oneEEEvPT_PKS6_S9_S9_llllS6_dd.has_indirect_call, 0
	.section	.AMDGPU.csdata,"",@progbits
; Kernel info:
; codeLenInByte = 1384
; TotalNumSgprs: 22
; NumVgprs: 23
; ScratchSize: 0
; MemoryBound: 0
; FloatMode: 240
; IeeeMode: 1
; LDSByteSize: 0 bytes/workgroup (compile time only)
; SGPRBlocks: 0
; VGPRBlocks: 2
; NumSGPRsForWavesPerEU: 22
; NumVGPRsForWavesPerEU: 23
; Occupancy: 16
; WaveLimiterHint : 1
; COMPUTE_PGM_RSRC2:SCRATCH_EN: 0
; COMPUTE_PGM_RSRC2:USER_SGPR: 2
; COMPUTE_PGM_RSRC2:TRAP_HANDLER: 0
; COMPUTE_PGM_RSRC2:TGID_X_EN: 1
; COMPUTE_PGM_RSRC2:TGID_Y_EN: 1
; COMPUTE_PGM_RSRC2:TGID_Z_EN: 0
; COMPUTE_PGM_RSRC2:TIDIG_COMP_CNT: 1
	.section	.text._ZN2at6native12_GLOBAL__N_131pdist_backward_kernel_cuda_implIdNS1_5distsIdE6lt_twoEEEvPT_PKS6_S9_S9_llllS6_dd,"axG",@progbits,_ZN2at6native12_GLOBAL__N_131pdist_backward_kernel_cuda_implIdNS1_5distsIdE6lt_twoEEEvPT_PKS6_S9_S9_llllS6_dd,comdat
	.globl	_ZN2at6native12_GLOBAL__N_131pdist_backward_kernel_cuda_implIdNS1_5distsIdE6lt_twoEEEvPT_PKS6_S9_S9_llllS6_dd ; -- Begin function _ZN2at6native12_GLOBAL__N_131pdist_backward_kernel_cuda_implIdNS1_5distsIdE6lt_twoEEEvPT_PKS6_S9_S9_llllS6_dd
	.p2align	8
	.type	_ZN2at6native12_GLOBAL__N_131pdist_backward_kernel_cuda_implIdNS1_5distsIdE6lt_twoEEEvPT_PKS6_S9_S9_llllS6_dd,@function
_ZN2at6native12_GLOBAL__N_131pdist_backward_kernel_cuda_implIdNS1_5distsIdE6lt_twoEEEvPT_PKS6_S9_S9_llllS6_dd: ; @_ZN2at6native12_GLOBAL__N_131pdist_backward_kernel_cuda_implIdNS1_5distsIdE6lt_twoEEEvPT_PKS6_S9_S9_llllS6_dd
; %bb.0:
	s_clause 0x1
	s_load_b32 s2, s[0:1], 0x64
	s_load_b512 s[4:19], s[0:1], 0x0
	v_dual_mov_b32 v2, 0 :: v_dual_and_b32 v1, 0x3ff, v0
	s_wait_kmcnt 0x0
	s_and_b32 s3, s2, 0xffff
	s_delay_alu instid0(VALU_DEP_1) | instid1(SALU_CYCLE_1)
	v_mad_co_u64_u32 v[2:3], null, s3, ttmp9, v[1:2]
	s_mov_b32 s3, exec_lo
	v_cmpx_gt_i64_e64 s[18:19], v[2:3]
	s_cbranch_execz .LBB22_6
; %bb.1:
	v_bfe_u32 v0, v0, 10, 10
	s_lshr_b32 s33, s2, 16
	s_delay_alu instid0(VALU_DEP_1) | instid1(SALU_CYCLE_1)
	v_mad_co_u64_u32 v[4:5], null, ttmp7, s33, v[0:1]
	s_delay_alu instid0(VALU_DEP_1) | instskip(NEXT) | instid1(VALU_DEP_1)
	v_ashrrev_i32_e32 v5, 31, v4
	v_cmp_gt_i64_e32 vcc_lo, s[16:17], v[4:5]
	s_and_b32 exec_lo, exec_lo, vcc_lo
	s_cbranch_execz .LBB22_6
; %bb.2:
	v_lshlrev_b64_e32 v[0:1], 3, v[2:3]
	s_mov_b32 s18, 0x968915a9
	s_mov_b32 s24, 0x4222de17
	;; [unrolled: 1-line block ×5, first 2 shown]
	v_add_co_u32 v0, vcc_lo, s10, v0
	s_delay_alu instid0(VALU_DEP_1)
	v_add_co_ci_u32_e64 v1, null, s11, v1, vcc_lo
	s_mov_b32 s10, 0x55555555
	s_mov_b32 s11, 0x3fe55555
	;; [unrolled: 1-line block ×3, first 2 shown]
	global_load_b64 v[12:13], v[0:1], off
	s_clause 0x1
	s_load_b128 s[20:23], s[0:1], 0x40
	s_load_b64 s[2:3], s[0:1], 0x50
	s_mov_b32 s28, 0x47e6c9c2
	s_mov_b32 s29, 0x3fc110ef
	;; [unrolled: 1-line block ×18, first 2 shown]
	s_wait_kmcnt 0x0
	v_add_f64_e64 v[0:1], s[20:21], -1.0
	s_mov_b32 s48, 0x3b39803f
	s_mov_b32 s49, 0x3c7abc9e
	;; [unrolled: 1-line block ×28, first 2 shown]
	v_lshlrev_b64_e32 v[4:5], 3, v[4:5]
	s_wait_loadcnt 0x0
	v_cmp_neq_f64_e32 vcc_lo, 1.0, v[12:13]
	s_wait_alu 0xfffd
	s_delay_alu instid0(VALU_DEP_3) | instskip(NEXT) | instid1(VALU_DEP_4)
	v_cndmask_b32_e32 v9, 0x3ff00000, v1, vcc_lo
	v_cndmask_b32_e32 v8, 0, v0, vcc_lo
	s_delay_alu instid0(VALU_DEP_1) | instskip(SKIP_3) | instid1(VALU_DEP_1)
	v_cmp_neq_f64_e32 vcc_lo, 0, v[8:9]
	s_wait_alu 0xfffd
	v_cndmask_b32_e32 v11, 0x3ff00000, v13, vcc_lo
	v_cndmask_b32_e32 v10, 0, v12, vcc_lo
	v_frexp_mant_f64_e64 v[6:7], |v[10:11]|
	s_delay_alu instid0(VALU_DEP_1) | instskip(SKIP_2) | instid1(VALU_DEP_1)
	v_cmp_gt_f64_e32 vcc_lo, s[10:11], v[6:7]
	s_wait_alu 0xfffd
	v_cndmask_b32_e64 v14, 0, 1, vcc_lo
	v_ldexp_f64 v[6:7], v[6:7], v14
	s_delay_alu instid0(VALU_DEP_1) | instskip(SKIP_1) | instid1(VALU_DEP_2)
	v_add_f64_e32 v[14:15], 1.0, v[6:7]
	v_add_f64_e32 v[20:21], -1.0, v[6:7]
	v_rcp_f64_e32 v[16:17], v[14:15]
	v_add_f64_e32 v[22:23], -1.0, v[14:15]
	s_delay_alu instid0(VALU_DEP_1) | instskip(NEXT) | instid1(TRANS32_DEP_1)
	v_add_f64_e64 v[6:7], v[6:7], -v[22:23]
	v_fma_f64 v[18:19], -v[14:15], v[16:17], 1.0
	s_delay_alu instid0(VALU_DEP_1) | instskip(NEXT) | instid1(VALU_DEP_1)
	v_fma_f64 v[16:17], v[18:19], v[16:17], v[16:17]
	v_fma_f64 v[18:19], -v[14:15], v[16:17], 1.0
	s_delay_alu instid0(VALU_DEP_1) | instskip(NEXT) | instid1(VALU_DEP_1)
	v_fma_f64 v[16:17], v[18:19], v[16:17], v[16:17]
	v_mul_f64_e32 v[18:19], v[20:21], v[16:17]
	s_delay_alu instid0(VALU_DEP_1) | instskip(NEXT) | instid1(VALU_DEP_1)
	v_mul_f64_e32 v[24:25], v[14:15], v[18:19]
	v_fma_f64 v[14:15], v[18:19], v[14:15], -v[24:25]
	s_delay_alu instid0(VALU_DEP_1) | instskip(NEXT) | instid1(VALU_DEP_1)
	v_fma_f64 v[6:7], v[18:19], v[6:7], v[14:15]
	v_add_f64_e32 v[14:15], v[24:25], v[6:7]
	s_delay_alu instid0(VALU_DEP_1) | instskip(SKIP_1) | instid1(VALU_DEP_2)
	v_add_f64_e64 v[22:23], v[20:21], -v[14:15]
	v_add_f64_e64 v[24:25], v[14:15], -v[24:25]
	;; [unrolled: 1-line block ×3, first 2 shown]
	s_delay_alu instid0(VALU_DEP_2) | instskip(NEXT) | instid1(VALU_DEP_2)
	v_add_f64_e64 v[6:7], v[24:25], -v[6:7]
	v_add_f64_e64 v[14:15], v[20:21], -v[14:15]
	s_delay_alu instid0(VALU_DEP_1) | instskip(NEXT) | instid1(VALU_DEP_1)
	v_add_f64_e32 v[6:7], v[6:7], v[14:15]
	v_add_f64_e32 v[6:7], v[22:23], v[6:7]
	s_delay_alu instid0(VALU_DEP_1) | instskip(NEXT) | instid1(VALU_DEP_1)
	v_mul_f64_e32 v[6:7], v[16:17], v[6:7]
	v_add_f64_e32 v[14:15], v[18:19], v[6:7]
	s_delay_alu instid0(VALU_DEP_1) | instskip(SKIP_1) | instid1(VALU_DEP_2)
	v_add_f64_e64 v[16:17], v[14:15], -v[18:19]
	v_mul_f64_e32 v[18:19], v[14:15], v[14:15]
	v_add_f64_e64 v[6:7], v[6:7], -v[16:17]
	s_delay_alu instid0(VALU_DEP_2) | instskip(NEXT) | instid1(VALU_DEP_2)
	v_fma_f64 v[16:17], v[14:15], v[14:15], -v[18:19]
	v_add_f64_e32 v[20:21], v[6:7], v[6:7]
	s_delay_alu instid0(VALU_DEP_1) | instskip(NEXT) | instid1(VALU_DEP_1)
	v_fma_f64 v[16:17], v[14:15], v[20:21], v[16:17]
	v_add_f64_e32 v[20:21], v[18:19], v[16:17]
	s_delay_alu instid0(VALU_DEP_1) | instskip(SKIP_2) | instid1(VALU_DEP_3)
	v_fma_f64 v[22:23], v[20:21], s[24:25], s[18:19]
	v_add_f64_e64 v[18:19], v[20:21], -v[18:19]
	v_mul_f64_e32 v[28:29], v[14:15], v[20:21]
	v_fma_f64 v[22:23], v[20:21], v[22:23], s[26:27]
	s_delay_alu instid0(VALU_DEP_3) | instskip(NEXT) | instid1(VALU_DEP_2)
	v_add_f64_e64 v[16:17], v[16:17], -v[18:19]
	v_fma_f64 v[22:23], v[20:21], v[22:23], s[28:29]
	s_delay_alu instid0(VALU_DEP_1) | instskip(NEXT) | instid1(VALU_DEP_1)
	v_fma_f64 v[22:23], v[20:21], v[22:23], s[30:31]
	v_fma_f64 v[22:23], v[20:21], v[22:23], s[34:35]
	s_delay_alu instid0(VALU_DEP_1) | instskip(NEXT) | instid1(VALU_DEP_1)
	v_fma_f64 v[22:23], v[20:21], v[22:23], s[36:37]
	v_fma_f64 v[22:23], v[20:21], v[22:23], s[38:39]
	s_delay_alu instid0(VALU_DEP_1) | instskip(NEXT) | instid1(VALU_DEP_1)
	v_fma_f64 v[22:23], v[20:21], v[22:23], s[40:41]
	v_mul_f64_e32 v[24:25], v[20:21], v[22:23]
	s_delay_alu instid0(VALU_DEP_1) | instskip(NEXT) | instid1(VALU_DEP_1)
	v_fma_f64 v[18:19], v[20:21], v[22:23], -v[24:25]
	v_fma_f64 v[18:19], v[16:17], v[22:23], v[18:19]
	s_delay_alu instid0(VALU_DEP_1) | instskip(NEXT) | instid1(VALU_DEP_1)
	v_add_f64_e32 v[22:23], v[24:25], v[18:19]
	v_add_f64_e32 v[26:27], s[10:11], v[22:23]
	v_add_f64_e64 v[24:25], v[22:23], -v[24:25]
	s_delay_alu instid0(VALU_DEP_2) | instskip(NEXT) | instid1(VALU_DEP_2)
	v_add_f64_e32 v[30:31], s[42:43], v[26:27]
	v_add_f64_e64 v[18:19], v[18:19], -v[24:25]
	v_fma_f64 v[24:25], v[20:21], v[14:15], -v[28:29]
	s_delay_alu instid0(VALU_DEP_3) | instskip(NEXT) | instid1(VALU_DEP_3)
	v_add_f64_e64 v[22:23], v[22:23], -v[30:31]
	v_add_f64_e32 v[18:19], s[44:45], v[18:19]
	s_delay_alu instid0(VALU_DEP_3) | instskip(SKIP_1) | instid1(VALU_DEP_3)
	v_fma_f64 v[20:21], v[20:21], v[6:7], v[24:25]
	v_ldexp_f64 v[6:7], v[6:7], 1
	v_add_f64_e32 v[18:19], v[18:19], v[22:23]
	s_delay_alu instid0(VALU_DEP_3) | instskip(SKIP_1) | instid1(VALU_DEP_3)
	v_fma_f64 v[16:17], v[16:17], v[14:15], v[20:21]
	v_ldexp_f64 v[14:15], v[14:15], 1
	v_add_f64_e32 v[20:21], v[26:27], v[18:19]
	s_delay_alu instid0(VALU_DEP_3) | instskip(NEXT) | instid1(VALU_DEP_2)
	v_add_f64_e32 v[22:23], v[28:29], v[16:17]
	v_add_f64_e64 v[24:25], v[26:27], -v[20:21]
	s_delay_alu instid0(VALU_DEP_2) | instskip(SKIP_1) | instid1(VALU_DEP_3)
	v_mul_f64_e32 v[26:27], v[22:23], v[20:21]
	v_add_f64_e64 v[28:29], v[22:23], -v[28:29]
	v_add_f64_e32 v[18:19], v[18:19], v[24:25]
	s_delay_alu instid0(VALU_DEP_3) | instskip(NEXT) | instid1(VALU_DEP_3)
	v_fma_f64 v[24:25], v[22:23], v[20:21], -v[26:27]
	v_add_f64_e64 v[16:17], v[16:17], -v[28:29]
	s_delay_alu instid0(VALU_DEP_2) | instskip(NEXT) | instid1(VALU_DEP_1)
	v_fma_f64 v[18:19], v[22:23], v[18:19], v[24:25]
	v_fma_f64 v[16:17], v[16:17], v[20:21], v[18:19]
	v_frexp_exp_i32_f64_e32 v20, v[10:11]
	s_delay_alu instid0(VALU_DEP_2) | instskip(NEXT) | instid1(VALU_DEP_2)
	v_add_f64_e32 v[18:19], v[26:27], v[16:17]
	v_subrev_co_ci_u32_e64 v20, null, 0, v20, vcc_lo
	s_delay_alu instid0(VALU_DEP_1) | instskip(NEXT) | instid1(VALU_DEP_3)
	v_cvt_f64_i32_e32 v[20:21], v20
	v_add_f64_e32 v[22:23], v[14:15], v[18:19]
	v_add_f64_e64 v[24:25], v[18:19], -v[26:27]
	s_delay_alu instid0(VALU_DEP_3) | instskip(NEXT) | instid1(VALU_DEP_3)
	v_mul_f64_e32 v[26:27], s[46:47], v[20:21]
	v_add_f64_e64 v[14:15], v[22:23], -v[14:15]
	s_delay_alu instid0(VALU_DEP_3) | instskip(NEXT) | instid1(VALU_DEP_3)
	v_add_f64_e64 v[16:17], v[16:17], -v[24:25]
	v_fma_f64 v[24:25], v[20:21], s[46:47], -v[26:27]
	s_delay_alu instid0(VALU_DEP_3) | instskip(NEXT) | instid1(VALU_DEP_3)
	v_add_f64_e64 v[14:15], v[18:19], -v[14:15]
	v_add_f64_e32 v[6:7], v[6:7], v[16:17]
	s_delay_alu instid0(VALU_DEP_3) | instskip(NEXT) | instid1(VALU_DEP_2)
	v_fma_f64 v[16:17], v[20:21], s[48:49], v[24:25]
	v_add_f64_e32 v[6:7], v[6:7], v[14:15]
	s_delay_alu instid0(VALU_DEP_2) | instskip(NEXT) | instid1(VALU_DEP_2)
	v_add_f64_e32 v[14:15], v[26:27], v[16:17]
	v_add_f64_e32 v[18:19], v[22:23], v[6:7]
	s_delay_alu instid0(VALU_DEP_2) | instskip(NEXT) | instid1(VALU_DEP_2)
	v_add_f64_e64 v[26:27], v[14:15], -v[26:27]
	v_add_f64_e32 v[20:21], v[14:15], v[18:19]
	v_add_f64_e64 v[22:23], v[18:19], -v[22:23]
	s_delay_alu instid0(VALU_DEP_3) | instskip(NEXT) | instid1(VALU_DEP_3)
	v_add_f64_e64 v[16:17], v[16:17], -v[26:27]
	v_add_f64_e64 v[24:25], v[20:21], -v[14:15]
	s_delay_alu instid0(VALU_DEP_3) | instskip(NEXT) | instid1(VALU_DEP_2)
	v_add_f64_e64 v[6:7], v[6:7], -v[22:23]
	v_add_f64_e64 v[28:29], v[20:21], -v[24:25]
	;; [unrolled: 1-line block ×3, first 2 shown]
	s_delay_alu instid0(VALU_DEP_3) | instskip(NEXT) | instid1(VALU_DEP_3)
	v_add_f64_e32 v[22:23], v[16:17], v[6:7]
	v_add_f64_e64 v[14:15], v[14:15], -v[28:29]
	s_delay_alu instid0(VALU_DEP_1) | instskip(NEXT) | instid1(VALU_DEP_3)
	v_add_f64_e32 v[14:15], v[18:19], v[14:15]
	v_add_f64_e64 v[18:19], v[22:23], -v[16:17]
	s_delay_alu instid0(VALU_DEP_2) | instskip(NEXT) | instid1(VALU_DEP_2)
	v_add_f64_e32 v[14:15], v[22:23], v[14:15]
	v_add_f64_e64 v[22:23], v[22:23], -v[18:19]
	v_add_f64_e64 v[6:7], v[6:7], -v[18:19]
	s_delay_alu instid0(VALU_DEP_3) | instskip(NEXT) | instid1(VALU_DEP_3)
	v_add_f64_e32 v[24:25], v[20:21], v[14:15]
	v_add_f64_e64 v[16:17], v[16:17], -v[22:23]
	s_delay_alu instid0(VALU_DEP_2) | instskip(NEXT) | instid1(VALU_DEP_2)
	v_add_f64_e64 v[18:19], v[24:25], -v[20:21]
	v_add_f64_e32 v[6:7], v[6:7], v[16:17]
	s_delay_alu instid0(VALU_DEP_2) | instskip(NEXT) | instid1(VALU_DEP_1)
	v_add_f64_e64 v[14:15], v[14:15], -v[18:19]
	v_add_f64_e32 v[6:7], v[6:7], v[14:15]
	s_delay_alu instid0(VALU_DEP_1) | instskip(NEXT) | instid1(VALU_DEP_1)
	v_add_f64_e32 v[14:15], v[24:25], v[6:7]
	v_add_f64_e64 v[16:17], v[14:15], -v[24:25]
	v_mul_f64_e32 v[18:19], v[8:9], v[14:15]
	s_delay_alu instid0(VALU_DEP_2) | instskip(NEXT) | instid1(VALU_DEP_2)
	v_add_f64_e64 v[6:7], v[6:7], -v[16:17]
	v_fma_f64 v[14:15], v[8:9], v[14:15], -v[18:19]
	v_cmp_class_f64_e64 vcc_lo, v[18:19], 0x204
	s_delay_alu instid0(VALU_DEP_2) | instskip(SKIP_1) | instid1(VALU_DEP_1)
	v_fma_f64 v[14:15], v[8:9], v[6:7], v[14:15]
	v_lshlrev_b64_e32 v[6:7], 1, v[2:3]
	v_cvt_f64_u32_e32 v[16:17], v7
	s_delay_alu instid0(VALU_DEP_2) | instskip(NEXT) | instid1(VALU_DEP_4)
	v_cvt_f64_u32_e32 v[6:7], v6
	v_add_f64_e32 v[20:21], v[18:19], v[14:15]
	s_delay_alu instid0(VALU_DEP_3) | instskip(SKIP_1) | instid1(VALU_DEP_2)
	v_ldexp_f64 v[16:17], v[16:17], 32
	s_wait_alu 0xfffd
	v_dual_cndmask_b32 v23, v21, v19 :: v_dual_cndmask_b32 v22, v20, v18
	v_add_f64_e64 v[18:19], v[20:21], -v[18:19]
	v_mul_f64_e32 v[20:21], 0.5, v[8:9]
	s_delay_alu instid0(VALU_DEP_4) | instskip(NEXT) | instid1(VALU_DEP_3)
	v_add_f64_e32 v[6:7], v[16:17], v[6:7]
	v_add_f64_e64 v[14:15], v[14:15], -v[18:19]
	s_delay_alu instid0(VALU_DEP_2) | instskip(NEXT) | instid1(VALU_DEP_1)
	v_add_f64_e64 v[6:7], s[2:3], -v[6:7]
	v_cmp_gt_f64_e32 vcc_lo, 0x10000000, v[6:7]
	s_wait_alu 0xfffd
	v_cndmask_b32_e64 v26, 0, 0x100, vcc_lo
	s_delay_alu instid0(VALU_DEP_1) | instskip(NEXT) | instid1(VALU_DEP_1)
	v_ldexp_f64 v[6:7], v[6:7], v26
	v_rsq_f64_e32 v[26:27], v[6:7]
	s_delay_alu instid0(TRANS32_DEP_1) | instskip(SKIP_1) | instid1(VALU_DEP_1)
	v_mul_f64_e32 v[30:31], v[6:7], v[26:27]
	v_mul_f64_e32 v[26:27], 0.5, v[26:27]
	v_fma_f64 v[32:33], -v[26:27], v[30:31], 0.5
	s_delay_alu instid0(VALU_DEP_1) | instskip(SKIP_1) | instid1(VALU_DEP_2)
	v_fma_f64 v[30:31], v[30:31], v[32:33], v[30:31]
	v_fma_f64 v[26:27], v[26:27], v[32:33], v[26:27]
	v_fma_f64 v[32:33], -v[30:31], v[30:31], v[6:7]
	s_delay_alu instid0(VALU_DEP_1) | instskip(NEXT) | instid1(VALU_DEP_1)
	v_fma_f64 v[30:31], v[32:33], v[26:27], v[30:31]
	v_fma_f64 v[32:33], -v[30:31], v[30:31], v[6:7]
	s_delay_alu instid0(VALU_DEP_1) | instskip(SKIP_3) | instid1(VALU_DEP_3)
	v_fma_f64 v[26:27], v[32:33], v[26:27], v[30:31]
	v_cndmask_b32_e64 v30, 0, 0xffffff80, vcc_lo
	v_cmp_class_f64_e64 vcc_lo, v[6:7], 0x260
	v_mul_lo_u32 v31, v2, s13
	v_ldexp_f64 v[26:27], v[26:27], v30
	v_mul_lo_u32 v30, v3, s12
	s_wait_alu 0xfffd
	s_delay_alu instid0(VALU_DEP_2) | instskip(NEXT) | instid1(VALU_DEP_1)
	v_dual_cndmask_b32 v7, v27, v7 :: v_dual_cndmask_b32 v6, v26, v6
	v_add_f64_e64 v[26:27], s[22:23], -v[6:7]
	v_mad_co_u64_u32 v[6:7], null, v2, s12, 0
	v_cmp_neq_f64_e64 s22, v[8:9], |v[8:9]|
	v_cmp_lt_f64_e64 s23, |v[10:11]|, 1.0
	s_lshl_b64 s[12:13], s[16:17], 3
	v_add3_u32 v7, v7, v31, v30
	s_delay_alu instid0(VALU_DEP_1) | instskip(NEXT) | instid1(VALU_DEP_1)
	v_lshlrev_b64_e32 v[6:7], 3, v[6:7]
	v_add_co_u32 v6, vcc_lo, s6, v6
	s_wait_alu 0xfffd
	s_delay_alu instid0(VALU_DEP_2)
	v_add_co_ci_u32_e64 v7, null, s7, v7, vcc_lo
	v_cmp_neq_f64_e64 vcc_lo, 0x7ff00000, |v[22:23]|
	s_add_nc_u64 s[6:7], s[0:1], 0x58
	global_load_b64 v[6:7], v[6:7], off
	s_load_b32 s0, s[6:7], 0x4
	v_cmp_lt_f64_e64 s6, s[20:21], 1.0
	s_mov_b32 s7, 0
	v_trunc_f64_e32 v[26:27], v[26:27]
	s_wait_kmcnt 0x0
	s_mul_i32 s20, s0, s33
	v_cmp_eq_f64_e64 s0, 0, v[12:13]
	s_wait_alu 0xfffe
	s_ashr_i32 s21, s20, 31
	v_cndmask_b32_e32 v15, 0, v15, vcc_lo
	v_mul_f64_e32 v[24:25], s[50:51], v[22:23]
	v_cmp_nlt_f64_e64 s2, 0x40900000, v[22:23]
	v_cmp_ngt_f64_e64 s3, 0xc090cc00, v[22:23]
	v_cndmask_b32_e32 v14, 0, v14, vcc_lo
	s_delay_alu instid0(VALU_DEP_4) | instskip(SKIP_1) | instid1(VALU_DEP_1)
	v_rndne_f64_e32 v[16:17], v[24:25]
	s_and_b32 vcc_lo, s3, s2
	v_fma_f64 v[24:25], v[16:17], s[52:53], v[22:23]
	v_cvt_i32_f64_e32 v30, v[16:17]
	v_trunc_f64_e32 v[22:23], v[20:21]
	s_delay_alu instid0(VALU_DEP_3) | instskip(NEXT) | instid1(VALU_DEP_1)
	v_fma_f64 v[24:25], v[16:17], s[54:55], v[24:25]
	v_fma_f64 v[28:29], v[24:25], s[58:59], s[56:57]
	s_delay_alu instid0(VALU_DEP_1) | instskip(NEXT) | instid1(VALU_DEP_1)
	v_fma_f64 v[28:29], v[24:25], v[28:29], s[60:61]
	v_fma_f64 v[28:29], v[24:25], v[28:29], s[62:63]
	s_delay_alu instid0(VALU_DEP_1) | instskip(NEXT) | instid1(VALU_DEP_1)
	v_fma_f64 v[28:29], v[24:25], v[28:29], s[64:65]
	v_fma_f64 v[28:29], v[24:25], v[28:29], s[66:67]
	s_delay_alu instid0(VALU_DEP_1) | instskip(NEXT) | instid1(VALU_DEP_1)
	v_fma_f64 v[28:29], v[24:25], v[28:29], s[68:69]
	v_fma_f64 v[28:29], v[24:25], v[28:29], s[70:71]
	s_delay_alu instid0(VALU_DEP_1) | instskip(NEXT) | instid1(VALU_DEP_1)
	v_fma_f64 v[28:29], v[24:25], v[28:29], s[72:73]
	v_fma_f64 v[28:29], v[24:25], v[28:29], s[74:75]
	s_delay_alu instid0(VALU_DEP_1) | instskip(NEXT) | instid1(VALU_DEP_1)
	v_fma_f64 v[28:29], v[24:25], v[28:29], 1.0
	v_fma_f64 v[16:17], v[24:25], v[28:29], 1.0
	v_ldexp_f64 v[24:25], v[26:27], 0xffffffe0
	s_delay_alu instid0(VALU_DEP_2) | instskip(NEXT) | instid1(VALU_DEP_2)
	v_ldexp_f64 v[16:17], v[16:17], v30
	v_floor_f64_e32 v[24:25], v[24:25]
	s_delay_alu instid0(VALU_DEP_2) | instskip(SKIP_1) | instid1(VALU_DEP_3)
	v_cndmask_b32_e64 v19, 0x7ff00000, v17, s2
	v_trunc_f64_e32 v[17:18], v[8:9]
	v_fma_f64 v[26:27], 0xc1f00000, v[24:25], v[26:27]
	s_wait_alu 0xfffe
	v_cndmask_b32_e32 v28, 0, v16, vcc_lo
	v_cmp_neq_f64_e64 s2, v[22:23], v[20:21]
	v_cndmask_b32_e64 v29, 0, v19, s3
	v_cvt_i32_f64_e32 v19, v[24:25]
	s_delay_alu instid0(VALU_DEP_2)
	v_fma_f64 v[14:15], v[28:29], v[14:15], v[28:29]
	v_cmp_class_f64_e64 s3, v[28:29], 0x204
	v_cmp_eq_f64_e32 vcc_lo, v[17:18], v[8:9]
	v_cvt_u32_f64_e32 v18, v[26:27]
	v_mul_lo_u32 v31, s14, v19
	s_wait_alu 0xf1ff
	s_delay_alu instid0(VALU_DEP_4)
	v_cndmask_b32_e64 v20, v14, v28, s3
	v_cndmask_b32_e64 v14, v15, v29, s3
	v_mul_lo_u32 v28, s16, v19
	s_and_b32 s1, vcc_lo, s2
	v_cmp_gt_f64_e64 s2, 0, v[8:9]
	s_wait_alu 0xfffe
	v_cndmask_b32_e64 v16, 0x3ff00000, v11, s1
	v_cndmask_b32_e32 v23, 0, v20, vcc_lo
	v_mul_lo_u32 v32, s17, v18
	v_mul_lo_u32 v33, s15, v18
	s_delay_alu instid0(VALU_DEP_4)
	v_bfi_b32 v21, 0x7fffffff, v14, v16
	v_cndmask_b32_e64 v14, 0, v11, s1
	v_add_co_u32 v24, s1, v18, 1
	s_wait_alu 0xf1ff
	v_add_co_ci_u32_e64 v25, null, 0, v19, s1
	v_cndmask_b32_e32 v22, 0x7ff80000, v21, vcc_lo
	v_cmp_gt_f64_e32 vcc_lo, 0, v[10:11]
	v_cmp_neq_f64_e64 s1, |v[10:11]|, 1.0
	s_delay_alu instid0(VALU_DEP_4) | instskip(SKIP_2) | instid1(VALU_DEP_1)
	v_mul_lo_u32 v29, v25, v18
	v_mul_lo_u32 v30, v24, v19
	v_mad_co_u64_u32 v[16:17], null, s14, v18, 0
	v_add3_u32 v17, v17, v31, v33
	v_cndmask_b32_e64 v12, 0x7ff00000, 0, s2
	s_xor_b32 s2, s22, s23
	s_wait_alu 0xfffe
	v_cndmask_b32_e64 v13, 0x7ff00000, 0, s2
	s_delay_alu instid0(VALU_DEP_2)
	v_bfi_b32 v27, 0x7fffffff, v12, v14
	v_mad_co_u64_u32 v[14:15], null, s16, v18, 0
	s_wait_alu 0xfffd
	v_cndmask_b32_e32 v21, v21, v22, vcc_lo
	v_cndmask_b32_e64 v26, 0x3ff00000, v13, s1
	v_cndmask_b32_e32 v20, v20, v23, vcc_lo
	v_sub_co_u32 v22, vcc_lo, s14, v18
	v_mad_co_u64_u32 v[12:13], null, v24, v18, 0
	s_wait_alu 0xfffd
	v_sub_co_ci_u32_e64 v23, null, s15, v19, vcc_lo
	v_cmp_class_f64_e64 vcc_lo, v[8:9], 0x204
	v_cmp_class_f64_e64 s1, v[10:11], 0x204
	v_add_co_u32 v22, s2, v22, -2
	v_add3_u32 v13, v13, v30, v29
	s_wait_alu 0xf1ff
	v_add_co_ci_u32_e64 v23, null, -1, v23, s2
	v_add3_u32 v15, v15, v28, v32
	s_delay_alu instid0(VALU_DEP_3) | instskip(NEXT) | instid1(VALU_DEP_3)
	v_lshrrev_b32_e32 v29, 31, v13
	v_mul_lo_u32 v23, v23, s14
	s_delay_alu instid0(VALU_DEP_2)
	v_add_co_u32 v12, s2, v12, v29
	s_wait_alu 0xf1ff
	v_add_co_ci_u32_e64 v13, null, 0, v13, s2
	v_sub_co_u32 v16, s2, v2, v16
	s_wait_alu 0xf1ff
	v_sub_co_ci_u32_e64 v17, null, v3, v17, s2
	s_delay_alu instid0(VALU_DEP_3) | instskip(SKIP_1) | instid1(VALU_DEP_2)
	v_ashrrev_i64 v[12:13], 1, v[12:13]
	v_lshlrev_b64_e32 v[2:3], 3, v[14:15]
	v_add_co_u32 v12, s2, v12, v16
	s_wait_alu 0xf1ff
	s_delay_alu instid0(VALU_DEP_3) | instskip(NEXT) | instid1(VALU_DEP_3)
	v_add_co_ci_u32_e64 v13, null, v13, v17, s2
	v_add_co_u32 v16, s2, s8, v2
	s_wait_alu 0xf1ff
	v_add_co_ci_u32_e64 v17, null, s9, v3, s2
	v_add_co_u32 v2, s2, v24, v12
	s_wait_alu 0xfffd
	v_cndmask_b32_e32 v21, v21, v26, vcc_lo
	s_wait_alu 0xf1ff
	v_add_co_ci_u32_e64 v3, null, v25, v13, s2
	v_mul_lo_u32 v26, v22, s15
	v_mul_lo_u32 v24, v12, s15
	;; [unrolled: 1-line block ×3, first 2 shown]
	s_delay_alu instid0(VALU_DEP_4)
	v_mad_co_u64_u32 v[14:15], null, v22, s14, v[2:3]
	v_cndmask_b32_e64 v22, v21, v27, s1
	s_or_b32 s1, s1, vcc_lo
	v_cmp_o_f64_e32 vcc_lo, v[10:11], v[8:9]
	v_mad_co_u64_u32 v[12:13], null, v12, s14, v[18:19]
	v_mul_lo_u32 v18, v3, s16
	v_mul_lo_u32 v19, v2, s17
	v_mad_co_u64_u32 v[8:9], null, v2, s16, 0
	v_add3_u32 v15, v23, v15, v26
	s_wait_alu 0xfffe
	v_cndmask_b32_e64 v27, v20, 0, s1
	v_add3_u32 v13, v25, v13, v24
	v_mul_lo_u32 v20, v12, s17
	v_mad_co_u64_u32 v[10:11], null, v12, s16, 0
	v_add3_u32 v9, v9, v19, v18
	s_delay_alu instid0(VALU_DEP_4)
	v_mul_lo_u32 v21, v13, s16
	v_mul_lo_u32 v18, s17, v14
	v_mad_co_u64_u32 v[12:13], null, s16, v14, 0
	v_mul_lo_u32 v19, s16, v15
	v_lshlrev_b64_e32 v[14:15], 3, v[8:9]
	v_add_co_u32 v2, s1, v16, s12
	v_add3_u32 v11, v11, v20, v21
	s_wait_alu 0xf1ff
	v_add_co_ci_u32_e64 v3, null, s13, v17, s1
	v_add_co_u32 v8, s1, v16, v4
	v_add3_u32 v13, v13, v19, v18
	v_lshlrev_b64_e32 v[10:11], 3, v[10:11]
	s_wait_alu 0xf1ff
	v_add_co_ci_u32_e64 v9, null, v17, v5, s1
	v_add_co_u32 v18, s1, s8, v14
	v_lshlrev_b64_e32 v[12:13], 3, v[12:13]
	s_wait_alu 0xf1ff
	v_add_co_ci_u32_e64 v19, null, s9, v15, s1
	v_add_co_u32 v20, s1, s4, v10
	s_wait_alu 0xf1ff
	v_add_co_ci_u32_e64 v21, null, s5, v11, s1
	s_wait_alu 0xfffd
	v_cndmask_b32_e32 v10, 0, v27, vcc_lo
	v_cndmask_b32_e32 v11, 0x7ff80000, v22, vcc_lo
	v_add_co_u32 v22, vcc_lo, s4, v12
	s_wait_alu 0xfffd
	v_add_co_ci_u32_e64 v23, null, s5, v13, vcc_lo
	s_lshl_b64 s[4:5], s[20:21], 3
	s_branch .LBB22_4
.LBB22_3:                               ;   in Loop: Header=BB22_4 Depth=1
	s_wait_alu 0xfffe
	s_or_b32 exec_lo, exec_lo, s8
	v_add_co_u32 v12, vcc_lo, v20, v4
	s_wait_alu 0xfffd
	v_add_co_ci_u32_e64 v13, null, v21, v5, vcc_lo
	v_add_co_u32 v8, vcc_lo, v8, s4
	s_wait_alu 0xfffd
	v_add_co_ci_u32_e64 v9, null, s5, v9, vcc_lo
	;; [unrolled: 3-line block ×3, first 2 shown]
	s_delay_alu instid0(VALU_DEP_3)
	v_cmp_ge_u64_e32 vcc_lo, v[8:9], v[2:3]
	v_add_co_u32 v4, s1, v4, s4
	global_store_b64 v[12:13], v[14:15], off
	v_xor_b32_e32 v15, 0x80000000, v15
	s_wait_alu 0xf1ff
	v_add_co_ci_u32_e64 v5, null, s5, v5, s1
	s_or_b32 s7, vcc_lo, s7
	global_store_b64 v[24:25], v[14:15], off
	s_wait_alu 0xfffe
	s_and_not1_b32 exec_lo, exec_lo, s7
	s_cbranch_execz .LBB22_6
.LBB22_4:                               ; =>This Inner Loop Header: Depth=1
	v_add_co_u32 v12, vcc_lo, v16, v4
	s_wait_alu 0xfffd
	v_add_co_ci_u32_e64 v13, null, v17, v5, vcc_lo
	v_add_co_u32 v14, vcc_lo, v18, v4
	s_wait_alu 0xfffd
	v_add_co_ci_u32_e64 v15, null, v19, v5, vcc_lo
	s_clause 0x1
	global_load_b64 v[12:13], v[12:13], off
	global_load_b64 v[14:15], v[14:15], off
	s_wait_loadcnt 0x0
	v_add_f64_e64 v[12:13], v[12:13], -v[14:15]
	v_mov_b32_e32 v14, 0
	v_mov_b32_e32 v15, 0
	s_delay_alu instid0(VALU_DEP_3)
	v_cmp_eq_f64_e32 vcc_lo, 0, v[12:13]
	s_and_b32 s1, s6, vcc_lo
	s_wait_alu 0xfffe
	s_nor_b32 s1, s0, s1
	s_wait_alu 0xfffe
	s_and_saveexec_b32 s8, s1
	s_cbranch_execz .LBB22_3
; %bb.5:                                ;   in Loop: Header=BB22_4 Depth=1
	v_cmp_neq_f64_e64 vcc_lo, |v[12:13]|, 1.0
	s_mov_b32 s42, s10
	s_mov_b32 s52, s46
	;; [unrolled: 1-line block ×3, first 2 shown]
	v_cmp_lt_f64_e64 s3, 0, v[12:13]
	s_wait_alu 0xfffd
	v_cndmask_b32_e32 v15, 0x3ff00000, v1, vcc_lo
	v_cndmask_b32_e32 v14, 0, v0, vcc_lo
	s_delay_alu instid0(VALU_DEP_1) | instskip(SKIP_3) | instid1(VALU_DEP_1)
	v_cmp_neq_f64_e32 vcc_lo, 0, v[14:15]
	s_wait_alu 0xfffd
	v_cndmask_b32_e32 v25, 0x3ff00000, v13, vcc_lo
	v_cndmask_b32_e32 v24, 0, v12, vcc_lo
	v_frexp_mant_f64_e64 v[26:27], |v[24:25]|
	s_delay_alu instid0(VALU_DEP_1) | instskip(SKIP_2) | instid1(VALU_DEP_1)
	v_cmp_gt_f64_e32 vcc_lo, s[10:11], v[26:27]
	s_wait_alu 0xfffd
	v_cndmask_b32_e64 v28, 0, 1, vcc_lo
	v_ldexp_f64 v[26:27], v[26:27], v28
	s_delay_alu instid0(VALU_DEP_1) | instskip(SKIP_1) | instid1(VALU_DEP_2)
	v_add_f64_e32 v[28:29], 1.0, v[26:27]
	v_add_f64_e32 v[34:35], -1.0, v[26:27]
	v_rcp_f64_e32 v[30:31], v[28:29]
	v_add_f64_e32 v[36:37], -1.0, v[28:29]
	s_delay_alu instid0(VALU_DEP_1) | instskip(NEXT) | instid1(TRANS32_DEP_1)
	v_add_f64_e64 v[26:27], v[26:27], -v[36:37]
	v_fma_f64 v[32:33], -v[28:29], v[30:31], 1.0
	s_delay_alu instid0(VALU_DEP_1) | instskip(NEXT) | instid1(VALU_DEP_1)
	v_fma_f64 v[30:31], v[32:33], v[30:31], v[30:31]
	v_fma_f64 v[32:33], -v[28:29], v[30:31], 1.0
	s_delay_alu instid0(VALU_DEP_1) | instskip(NEXT) | instid1(VALU_DEP_1)
	v_fma_f64 v[30:31], v[32:33], v[30:31], v[30:31]
	v_mul_f64_e32 v[32:33], v[34:35], v[30:31]
	s_delay_alu instid0(VALU_DEP_1) | instskip(NEXT) | instid1(VALU_DEP_1)
	v_mul_f64_e32 v[38:39], v[28:29], v[32:33]
	v_fma_f64 v[28:29], v[32:33], v[28:29], -v[38:39]
	s_delay_alu instid0(VALU_DEP_1) | instskip(NEXT) | instid1(VALU_DEP_1)
	v_fma_f64 v[26:27], v[32:33], v[26:27], v[28:29]
	v_add_f64_e32 v[28:29], v[38:39], v[26:27]
	s_delay_alu instid0(VALU_DEP_1) | instskip(SKIP_1) | instid1(VALU_DEP_2)
	v_add_f64_e64 v[36:37], v[34:35], -v[28:29]
	v_add_f64_e64 v[38:39], v[28:29], -v[38:39]
	;; [unrolled: 1-line block ×3, first 2 shown]
	s_delay_alu instid0(VALU_DEP_2) | instskip(NEXT) | instid1(VALU_DEP_2)
	v_add_f64_e64 v[26:27], v[38:39], -v[26:27]
	v_add_f64_e64 v[28:29], v[34:35], -v[28:29]
	s_delay_alu instid0(VALU_DEP_1) | instskip(NEXT) | instid1(VALU_DEP_1)
	v_add_f64_e32 v[26:27], v[26:27], v[28:29]
	v_add_f64_e32 v[26:27], v[36:37], v[26:27]
	s_delay_alu instid0(VALU_DEP_1) | instskip(NEXT) | instid1(VALU_DEP_1)
	v_mul_f64_e32 v[26:27], v[30:31], v[26:27]
	v_add_f64_e32 v[28:29], v[32:33], v[26:27]
	s_delay_alu instid0(VALU_DEP_1) | instskip(SKIP_1) | instid1(VALU_DEP_2)
	v_add_f64_e64 v[30:31], v[28:29], -v[32:33]
	v_mul_f64_e32 v[32:33], v[28:29], v[28:29]
	v_add_f64_e64 v[26:27], v[26:27], -v[30:31]
	s_delay_alu instid0(VALU_DEP_2) | instskip(NEXT) | instid1(VALU_DEP_2)
	v_fma_f64 v[30:31], v[28:29], v[28:29], -v[32:33]
	v_add_f64_e32 v[34:35], v[26:27], v[26:27]
	s_delay_alu instid0(VALU_DEP_1) | instskip(NEXT) | instid1(VALU_DEP_1)
	v_fma_f64 v[30:31], v[28:29], v[34:35], v[30:31]
	v_add_f64_e32 v[34:35], v[32:33], v[30:31]
	s_delay_alu instid0(VALU_DEP_1) | instskip(SKIP_2) | instid1(VALU_DEP_3)
	v_fma_f64 v[36:37], v[34:35], s[24:25], s[18:19]
	v_add_f64_e64 v[32:33], v[34:35], -v[32:33]
	v_mul_f64_e32 v[42:43], v[28:29], v[34:35]
	v_fma_f64 v[36:37], v[34:35], v[36:37], s[26:27]
	s_delay_alu instid0(VALU_DEP_3) | instskip(NEXT) | instid1(VALU_DEP_2)
	v_add_f64_e64 v[30:31], v[30:31], -v[32:33]
	v_fma_f64 v[36:37], v[34:35], v[36:37], s[28:29]
	s_delay_alu instid0(VALU_DEP_1) | instskip(NEXT) | instid1(VALU_DEP_1)
	v_fma_f64 v[36:37], v[34:35], v[36:37], s[30:31]
	v_fma_f64 v[36:37], v[34:35], v[36:37], s[34:35]
	s_delay_alu instid0(VALU_DEP_1) | instskip(NEXT) | instid1(VALU_DEP_1)
	v_fma_f64 v[36:37], v[34:35], v[36:37], s[36:37]
	;; [unrolled: 3-line block ×3, first 2 shown]
	v_mul_f64_e32 v[38:39], v[34:35], v[36:37]
	s_delay_alu instid0(VALU_DEP_1) | instskip(NEXT) | instid1(VALU_DEP_1)
	v_fma_f64 v[32:33], v[34:35], v[36:37], -v[38:39]
	v_fma_f64 v[32:33], v[30:31], v[36:37], v[32:33]
	s_delay_alu instid0(VALU_DEP_1) | instskip(NEXT) | instid1(VALU_DEP_1)
	v_add_f64_e32 v[36:37], v[38:39], v[32:33]
	v_add_f64_e32 v[40:41], s[10:11], v[36:37]
	v_add_f64_e64 v[38:39], v[36:37], -v[38:39]
	s_wait_alu 0xfffe
	s_delay_alu instid0(VALU_DEP_2) | instskip(NEXT) | instid1(VALU_DEP_2)
	v_add_f64_e32 v[44:45], s[42:43], v[40:41]
	v_add_f64_e64 v[32:33], v[32:33], -v[38:39]
	v_fma_f64 v[38:39], v[34:35], v[28:29], -v[42:43]
	s_delay_alu instid0(VALU_DEP_3) | instskip(NEXT) | instid1(VALU_DEP_3)
	v_add_f64_e64 v[36:37], v[36:37], -v[44:45]
	v_add_f64_e32 v[32:33], s[44:45], v[32:33]
	s_delay_alu instid0(VALU_DEP_3) | instskip(SKIP_1) | instid1(VALU_DEP_3)
	v_fma_f64 v[34:35], v[34:35], v[26:27], v[38:39]
	v_ldexp_f64 v[26:27], v[26:27], 1
	v_add_f64_e32 v[32:33], v[32:33], v[36:37]
	s_delay_alu instid0(VALU_DEP_3) | instskip(SKIP_1) | instid1(VALU_DEP_3)
	v_fma_f64 v[30:31], v[30:31], v[28:29], v[34:35]
	v_ldexp_f64 v[28:29], v[28:29], 1
	v_add_f64_e32 v[34:35], v[40:41], v[32:33]
	s_delay_alu instid0(VALU_DEP_3) | instskip(NEXT) | instid1(VALU_DEP_2)
	v_add_f64_e32 v[36:37], v[42:43], v[30:31]
	v_add_f64_e64 v[38:39], v[40:41], -v[34:35]
	s_delay_alu instid0(VALU_DEP_2) | instskip(SKIP_1) | instid1(VALU_DEP_3)
	v_mul_f64_e32 v[40:41], v[36:37], v[34:35]
	v_add_f64_e64 v[42:43], v[36:37], -v[42:43]
	v_add_f64_e32 v[32:33], v[32:33], v[38:39]
	s_delay_alu instid0(VALU_DEP_3) | instskip(NEXT) | instid1(VALU_DEP_3)
	v_fma_f64 v[38:39], v[36:37], v[34:35], -v[40:41]
	v_add_f64_e64 v[30:31], v[30:31], -v[42:43]
	s_delay_alu instid0(VALU_DEP_2) | instskip(NEXT) | instid1(VALU_DEP_1)
	v_fma_f64 v[32:33], v[36:37], v[32:33], v[38:39]
	v_fma_f64 v[30:31], v[30:31], v[34:35], v[32:33]
	v_frexp_exp_i32_f64_e32 v34, v[24:25]
	s_delay_alu instid0(VALU_DEP_2) | instskip(NEXT) | instid1(VALU_DEP_2)
	v_add_f64_e32 v[32:33], v[40:41], v[30:31]
	v_subrev_co_ci_u32_e64 v34, null, 0, v34, vcc_lo
	s_delay_alu instid0(VALU_DEP_1) | instskip(NEXT) | instid1(VALU_DEP_3)
	v_cvt_f64_i32_e32 v[34:35], v34
	v_add_f64_e32 v[36:37], v[28:29], v[32:33]
	v_add_f64_e64 v[38:39], v[32:33], -v[40:41]
	s_delay_alu instid0(VALU_DEP_3) | instskip(NEXT) | instid1(VALU_DEP_3)
	v_mul_f64_e32 v[40:41], s[46:47], v[34:35]
	v_add_f64_e64 v[28:29], v[36:37], -v[28:29]
	s_delay_alu instid0(VALU_DEP_3) | instskip(NEXT) | instid1(VALU_DEP_3)
	v_add_f64_e64 v[30:31], v[30:31], -v[38:39]
	v_fma_f64 v[38:39], v[34:35], s[46:47], -v[40:41]
	s_delay_alu instid0(VALU_DEP_3) | instskip(NEXT) | instid1(VALU_DEP_3)
	v_add_f64_e64 v[28:29], v[32:33], -v[28:29]
	v_add_f64_e32 v[26:27], v[26:27], v[30:31]
	s_delay_alu instid0(VALU_DEP_3) | instskip(NEXT) | instid1(VALU_DEP_2)
	v_fma_f64 v[30:31], v[34:35], s[48:49], v[38:39]
	v_add_f64_e32 v[26:27], v[26:27], v[28:29]
	s_delay_alu instid0(VALU_DEP_2) | instskip(NEXT) | instid1(VALU_DEP_2)
	v_add_f64_e32 v[28:29], v[40:41], v[30:31]
	v_add_f64_e32 v[32:33], v[36:37], v[26:27]
	s_delay_alu instid0(VALU_DEP_2) | instskip(NEXT) | instid1(VALU_DEP_2)
	v_add_f64_e64 v[40:41], v[28:29], -v[40:41]
	v_add_f64_e32 v[34:35], v[28:29], v[32:33]
	v_add_f64_e64 v[36:37], v[32:33], -v[36:37]
	s_delay_alu instid0(VALU_DEP_3) | instskip(NEXT) | instid1(VALU_DEP_3)
	v_add_f64_e64 v[30:31], v[30:31], -v[40:41]
	v_add_f64_e64 v[38:39], v[34:35], -v[28:29]
	s_delay_alu instid0(VALU_DEP_3) | instskip(NEXT) | instid1(VALU_DEP_2)
	v_add_f64_e64 v[26:27], v[26:27], -v[36:37]
	v_add_f64_e64 v[42:43], v[34:35], -v[38:39]
	;; [unrolled: 1-line block ×3, first 2 shown]
	s_delay_alu instid0(VALU_DEP_3) | instskip(NEXT) | instid1(VALU_DEP_3)
	v_add_f64_e32 v[36:37], v[30:31], v[26:27]
	v_add_f64_e64 v[28:29], v[28:29], -v[42:43]
	s_delay_alu instid0(VALU_DEP_1) | instskip(NEXT) | instid1(VALU_DEP_3)
	v_add_f64_e32 v[28:29], v[32:33], v[28:29]
	v_add_f64_e64 v[32:33], v[36:37], -v[30:31]
	s_delay_alu instid0(VALU_DEP_2) | instskip(NEXT) | instid1(VALU_DEP_2)
	v_add_f64_e32 v[28:29], v[36:37], v[28:29]
	v_add_f64_e64 v[36:37], v[36:37], -v[32:33]
	v_add_f64_e64 v[26:27], v[26:27], -v[32:33]
	s_delay_alu instid0(VALU_DEP_3) | instskip(NEXT) | instid1(VALU_DEP_3)
	v_add_f64_e32 v[38:39], v[34:35], v[28:29]
	v_add_f64_e64 v[30:31], v[30:31], -v[36:37]
	s_delay_alu instid0(VALU_DEP_2) | instskip(NEXT) | instid1(VALU_DEP_2)
	v_add_f64_e64 v[32:33], v[38:39], -v[34:35]
	v_add_f64_e32 v[26:27], v[26:27], v[30:31]
	s_delay_alu instid0(VALU_DEP_2) | instskip(NEXT) | instid1(VALU_DEP_1)
	v_add_f64_e64 v[28:29], v[28:29], -v[32:33]
	v_add_f64_e32 v[26:27], v[26:27], v[28:29]
	s_delay_alu instid0(VALU_DEP_1) | instskip(NEXT) | instid1(VALU_DEP_1)
	v_add_f64_e32 v[28:29], v[38:39], v[26:27]
	v_add_f64_e64 v[30:31], v[28:29], -v[38:39]
	v_mul_f64_e32 v[32:33], v[14:15], v[28:29]
	s_delay_alu instid0(VALU_DEP_2) | instskip(NEXT) | instid1(VALU_DEP_2)
	v_add_f64_e64 v[26:27], v[26:27], -v[30:31]
	v_fma_f64 v[28:29], v[14:15], v[28:29], -v[32:33]
	v_cmp_class_f64_e64 vcc_lo, v[32:33], 0x204
	s_delay_alu instid0(VALU_DEP_2) | instskip(NEXT) | instid1(VALU_DEP_1)
	v_fma_f64 v[26:27], v[14:15], v[26:27], v[28:29]
	v_add_f64_e32 v[28:29], v[32:33], v[26:27]
	s_wait_alu 0xfffd
	s_delay_alu instid0(VALU_DEP_1) | instskip(SKIP_1) | instid1(VALU_DEP_2)
	v_dual_cndmask_b32 v31, v29, v33 :: v_dual_cndmask_b32 v30, v28, v32
	v_add_f64_e64 v[28:29], v[28:29], -v[32:33]
	v_mul_f64_e32 v[34:35], s[50:51], v[30:31]
	v_cmp_nlt_f64_e64 s1, 0x40900000, v[30:31]
	v_cmp_neq_f64_e64 vcc_lo, 0x7ff00000, |v[30:31]|
	v_cmp_ngt_f64_e64 s2, 0xc090cc00, v[30:31]
	v_add_f64_e64 v[26:27], v[26:27], -v[28:29]
	v_rndne_f64_e32 v[34:35], v[34:35]
	s_wait_alu 0xfffd
	s_delay_alu instid0(VALU_DEP_2) | instskip(SKIP_2) | instid1(VALU_DEP_3)
	v_dual_cndmask_b32 v27, 0, v27 :: v_dual_cndmask_b32 v26, 0, v26
	s_and_b32 vcc_lo, s2, s1
	v_cmp_eq_f64_e64 s9, |v[24:25]|, 0
	v_fma_f64 v[36:37], v[34:35], s[52:53], v[30:31]
	v_cvt_i32_f64_e32 v40, v[34:35]
	v_cmp_class_f64_e64 s12, v[24:25], 0x204
	s_delay_alu instid0(VALU_DEP_3) | instskip(NEXT) | instid1(VALU_DEP_1)
	v_fma_f64 v[36:37], v[34:35], s[54:55], v[36:37]
	v_fma_f64 v[38:39], v[36:37], s[58:59], s[56:57]
	s_delay_alu instid0(VALU_DEP_1) | instskip(NEXT) | instid1(VALU_DEP_1)
	v_fma_f64 v[38:39], v[36:37], v[38:39], s[60:61]
	v_fma_f64 v[38:39], v[36:37], v[38:39], s[62:63]
	s_delay_alu instid0(VALU_DEP_1) | instskip(NEXT) | instid1(VALU_DEP_1)
	;; [unrolled: 3-line block ×5, first 2 shown]
	v_fma_f64 v[38:39], v[36:37], v[38:39], 1.0
	v_fma_f64 v[34:35], v[36:37], v[38:39], 1.0
	s_delay_alu instid0(VALU_DEP_1) | instskip(NEXT) | instid1(VALU_DEP_1)
	v_ldexp_f64 v[32:33], v[34:35], v40
	v_cndmask_b32_e64 v28, 0x7ff00000, v33, s1
	v_cmp_neq_f64_e64 s1, v[14:15], |v[14:15]|
	s_delay_alu instid0(VALU_DEP_2) | instskip(SKIP_4) | instid1(VALU_DEP_2)
	v_cndmask_b32_e64 v29, 0, v28, s2
	v_cmp_lt_f64_e64 s2, |v[24:25]|, 1.0
	s_wait_alu 0xfffe
	v_cndmask_b32_e32 v28, 0, v32, vcc_lo
	v_cmp_gt_f64_e32 vcc_lo, 0, v[14:15]
	v_fma_f64 v[26:27], v[28:29], v[26:27], v[28:29]
	s_xor_b32 s1, s1, s2
	v_cmp_neq_f64_e64 s2, |v[24:25]|, 1.0
	s_wait_alu 0xfffe
	v_cndmask_b32_e64 v30, 0x7ff00000, 0, s1
	v_cmp_class_f64_e64 s1, v[28:29], 0x204
	s_wait_alu 0xf1ff
	s_delay_alu instid0(VALU_DEP_1) | instskip(NEXT) | instid1(VALU_DEP_3)
	v_cndmask_b32_e64 v27, v27, v29, s1
	v_cndmask_b32_e64 v29, 0x3ff00000, v30, s2
	v_cmp_class_f64_e64 s2, v[14:15], 0x204
	v_cndmask_b32_e64 v30, 0, 1, s3
	s_xor_b32 s3, vcc_lo, s9
	v_cmp_gt_f64_e32 vcc_lo, 0, v[12:13]
	v_and_b32_e32 v27, 0x7fffffff, v27
	s_wait_alu 0xfffe
	v_cndmask_b32_e64 v31, 0x7ff00000, 0, s3
	v_cndmask_b32_e64 v26, v26, v28, s1
	s_delay_alu instid0(VALU_DEP_3)
	v_cndmask_b32_e64 v27, v27, v29, s2
	s_wait_alu 0xfffd
	v_subrev_co_ci_u32_e64 v12, null, 0, v30, vcc_lo
	s_or_b32 vcc_lo, s9, s12
	s_wait_alu 0xfffe
	v_cndmask_b32_e32 v27, v27, v31, vcc_lo
	s_or_b32 s1, vcc_lo, s2
	v_cmp_o_f64_e64 vcc_lo, |v[24:25]|, v[14:15]
	v_cvt_f64_i32_e32 v[12:13], v12
	s_wait_alu 0xfffe
	v_cndmask_b32_e64 v26, v26, 0, s1
	s_wait_alu 0xfffd
	s_delay_alu instid0(VALU_DEP_1) | instskip(SKIP_1) | instid1(VALU_DEP_1)
	v_cndmask_b32_e32 v14, 0, v26, vcc_lo
	v_cndmask_b32_e32 v15, 0x7ff80000, v27, vcc_lo
	v_mul_f64_e32 v[12:13], v[14:15], v[12:13]
	s_delay_alu instid0(VALU_DEP_1) | instskip(NEXT) | instid1(VALU_DEP_1)
	v_mul_f64_e32 v[12:13], v[6:7], v[12:13]
	v_div_scale_f64 v[14:15], null, v[10:11], v[10:11], v[12:13]
	s_delay_alu instid0(VALU_DEP_1) | instskip(NEXT) | instid1(TRANS32_DEP_1)
	v_rcp_f64_e32 v[24:25], v[14:15]
	v_fma_f64 v[26:27], -v[14:15], v[24:25], 1.0
	s_delay_alu instid0(VALU_DEP_1) | instskip(NEXT) | instid1(VALU_DEP_1)
	v_fma_f64 v[24:25], v[24:25], v[26:27], v[24:25]
	v_fma_f64 v[26:27], -v[14:15], v[24:25], 1.0
	s_delay_alu instid0(VALU_DEP_1) | instskip(SKIP_1) | instid1(VALU_DEP_1)
	v_fma_f64 v[24:25], v[24:25], v[26:27], v[24:25]
	v_div_scale_f64 v[26:27], vcc_lo, v[12:13], v[10:11], v[12:13]
	v_mul_f64_e32 v[28:29], v[26:27], v[24:25]
	s_delay_alu instid0(VALU_DEP_1) | instskip(SKIP_1) | instid1(VALU_DEP_1)
	v_fma_f64 v[14:15], -v[14:15], v[28:29], v[26:27]
	s_wait_alu 0xfffd
	v_div_fmas_f64 v[14:15], v[14:15], v[24:25], v[28:29]
	s_delay_alu instid0(VALU_DEP_1)
	v_div_fixup_f64 v[14:15], v[14:15], v[10:11], v[12:13]
	s_branch .LBB22_3
.LBB22_6:
	s_endpgm
	.section	.rodata,"a",@progbits
	.p2align	6, 0x0
	.amdhsa_kernel _ZN2at6native12_GLOBAL__N_131pdist_backward_kernel_cuda_implIdNS1_5distsIdE6lt_twoEEEvPT_PKS6_S9_S9_llllS6_dd
		.amdhsa_group_segment_fixed_size 0
		.amdhsa_private_segment_fixed_size 0
		.amdhsa_kernarg_size 344
		.amdhsa_user_sgpr_count 2
		.amdhsa_user_sgpr_dispatch_ptr 0
		.amdhsa_user_sgpr_queue_ptr 0
		.amdhsa_user_sgpr_kernarg_segment_ptr 1
		.amdhsa_user_sgpr_dispatch_id 0
		.amdhsa_user_sgpr_private_segment_size 0
		.amdhsa_wavefront_size32 1
		.amdhsa_uses_dynamic_stack 0
		.amdhsa_enable_private_segment 0
		.amdhsa_system_sgpr_workgroup_id_x 1
		.amdhsa_system_sgpr_workgroup_id_y 1
		.amdhsa_system_sgpr_workgroup_id_z 0
		.amdhsa_system_sgpr_workgroup_info 0
		.amdhsa_system_vgpr_workitem_id 1
		.amdhsa_next_free_vgpr 46
		.amdhsa_next_free_sgpr 76
		.amdhsa_reserve_vcc 1
		.amdhsa_float_round_mode_32 0
		.amdhsa_float_round_mode_16_64 0
		.amdhsa_float_denorm_mode_32 3
		.amdhsa_float_denorm_mode_16_64 3
		.amdhsa_fp16_overflow 0
		.amdhsa_workgroup_processor_mode 1
		.amdhsa_memory_ordered 1
		.amdhsa_forward_progress 1
		.amdhsa_inst_pref_size 40
		.amdhsa_round_robin_scheduling 0
		.amdhsa_exception_fp_ieee_invalid_op 0
		.amdhsa_exception_fp_denorm_src 0
		.amdhsa_exception_fp_ieee_div_zero 0
		.amdhsa_exception_fp_ieee_overflow 0
		.amdhsa_exception_fp_ieee_underflow 0
		.amdhsa_exception_fp_ieee_inexact 0
		.amdhsa_exception_int_div_zero 0
	.end_amdhsa_kernel
	.section	.text._ZN2at6native12_GLOBAL__N_131pdist_backward_kernel_cuda_implIdNS1_5distsIdE6lt_twoEEEvPT_PKS6_S9_S9_llllS6_dd,"axG",@progbits,_ZN2at6native12_GLOBAL__N_131pdist_backward_kernel_cuda_implIdNS1_5distsIdE6lt_twoEEEvPT_PKS6_S9_S9_llllS6_dd,comdat
.Lfunc_end22:
	.size	_ZN2at6native12_GLOBAL__N_131pdist_backward_kernel_cuda_implIdNS1_5distsIdE6lt_twoEEEvPT_PKS6_S9_S9_llllS6_dd, .Lfunc_end22-_ZN2at6native12_GLOBAL__N_131pdist_backward_kernel_cuda_implIdNS1_5distsIdE6lt_twoEEEvPT_PKS6_S9_S9_llllS6_dd
                                        ; -- End function
	.set _ZN2at6native12_GLOBAL__N_131pdist_backward_kernel_cuda_implIdNS1_5distsIdE6lt_twoEEEvPT_PKS6_S9_S9_llllS6_dd.num_vgpr, 46
	.set _ZN2at6native12_GLOBAL__N_131pdist_backward_kernel_cuda_implIdNS1_5distsIdE6lt_twoEEEvPT_PKS6_S9_S9_llllS6_dd.num_agpr, 0
	.set _ZN2at6native12_GLOBAL__N_131pdist_backward_kernel_cuda_implIdNS1_5distsIdE6lt_twoEEEvPT_PKS6_S9_S9_llllS6_dd.numbered_sgpr, 76
	.set _ZN2at6native12_GLOBAL__N_131pdist_backward_kernel_cuda_implIdNS1_5distsIdE6lt_twoEEEvPT_PKS6_S9_S9_llllS6_dd.num_named_barrier, 0
	.set _ZN2at6native12_GLOBAL__N_131pdist_backward_kernel_cuda_implIdNS1_5distsIdE6lt_twoEEEvPT_PKS6_S9_S9_llllS6_dd.private_seg_size, 0
	.set _ZN2at6native12_GLOBAL__N_131pdist_backward_kernel_cuda_implIdNS1_5distsIdE6lt_twoEEEvPT_PKS6_S9_S9_llllS6_dd.uses_vcc, 1
	.set _ZN2at6native12_GLOBAL__N_131pdist_backward_kernel_cuda_implIdNS1_5distsIdE6lt_twoEEEvPT_PKS6_S9_S9_llllS6_dd.uses_flat_scratch, 0
	.set _ZN2at6native12_GLOBAL__N_131pdist_backward_kernel_cuda_implIdNS1_5distsIdE6lt_twoEEEvPT_PKS6_S9_S9_llllS6_dd.has_dyn_sized_stack, 0
	.set _ZN2at6native12_GLOBAL__N_131pdist_backward_kernel_cuda_implIdNS1_5distsIdE6lt_twoEEEvPT_PKS6_S9_S9_llllS6_dd.has_recursion, 0
	.set _ZN2at6native12_GLOBAL__N_131pdist_backward_kernel_cuda_implIdNS1_5distsIdE6lt_twoEEEvPT_PKS6_S9_S9_llllS6_dd.has_indirect_call, 0
	.section	.AMDGPU.csdata,"",@progbits
; Kernel info:
; codeLenInByte = 5096
; TotalNumSgprs: 78
; NumVgprs: 46
; ScratchSize: 0
; MemoryBound: 0
; FloatMode: 240
; IeeeMode: 1
; LDSByteSize: 0 bytes/workgroup (compile time only)
; SGPRBlocks: 0
; VGPRBlocks: 5
; NumSGPRsForWavesPerEU: 78
; NumVGPRsForWavesPerEU: 46
; Occupancy: 16
; WaveLimiterHint : 0
; COMPUTE_PGM_RSRC2:SCRATCH_EN: 0
; COMPUTE_PGM_RSRC2:USER_SGPR: 2
; COMPUTE_PGM_RSRC2:TRAP_HANDLER: 0
; COMPUTE_PGM_RSRC2:TGID_X_EN: 1
; COMPUTE_PGM_RSRC2:TGID_Y_EN: 1
; COMPUTE_PGM_RSRC2:TGID_Z_EN: 0
; COMPUTE_PGM_RSRC2:TIDIG_COMP_CNT: 1
	.section	.text._ZN2at6native12_GLOBAL__N_131pdist_backward_kernel_cuda_implIdNS1_5distsIdE3twoEEEvPT_PKS6_S9_S9_llllS6_dd,"axG",@progbits,_ZN2at6native12_GLOBAL__N_131pdist_backward_kernel_cuda_implIdNS1_5distsIdE3twoEEEvPT_PKS6_S9_S9_llllS6_dd,comdat
	.globl	_ZN2at6native12_GLOBAL__N_131pdist_backward_kernel_cuda_implIdNS1_5distsIdE3twoEEEvPT_PKS6_S9_S9_llllS6_dd ; -- Begin function _ZN2at6native12_GLOBAL__N_131pdist_backward_kernel_cuda_implIdNS1_5distsIdE3twoEEEvPT_PKS6_S9_S9_llllS6_dd
	.p2align	8
	.type	_ZN2at6native12_GLOBAL__N_131pdist_backward_kernel_cuda_implIdNS1_5distsIdE3twoEEEvPT_PKS6_S9_S9_llllS6_dd,@function
_ZN2at6native12_GLOBAL__N_131pdist_backward_kernel_cuda_implIdNS1_5distsIdE3twoEEEvPT_PKS6_S9_S9_llllS6_dd: ; @_ZN2at6native12_GLOBAL__N_131pdist_backward_kernel_cuda_implIdNS1_5distsIdE3twoEEEvPT_PKS6_S9_S9_llllS6_dd
; %bb.0:
	s_clause 0x1
	s_load_b32 s2, s[0:1], 0x64
	s_load_b512 s[4:19], s[0:1], 0x0
	v_dual_mov_b32 v2, 0 :: v_dual_and_b32 v1, 0x3ff, v0
	s_wait_kmcnt 0x0
	s_and_b32 s3, s2, 0xffff
	s_delay_alu instid0(VALU_DEP_1) | instid1(SALU_CYCLE_1)
	v_mad_co_u64_u32 v[4:5], null, s3, ttmp9, v[1:2]
	s_mov_b32 s3, exec_lo
	v_cmpx_gt_i64_e64 s[18:19], v[4:5]
	s_cbranch_execz .LBB23_6
; %bb.1:
	v_bfe_u32 v0, v0, 10, 10
	s_lshr_b32 s3, s2, 16
	s_wait_alu 0xfffe
	s_delay_alu instid0(VALU_DEP_1) | instskip(NEXT) | instid1(VALU_DEP_1)
	v_mad_co_u64_u32 v[6:7], null, ttmp7, s3, v[0:1]
	v_ashrrev_i32_e32 v7, 31, v6
	s_delay_alu instid0(VALU_DEP_1)
	v_cmp_gt_i64_e32 vcc_lo, s[16:17], v[6:7]
	s_and_b32 exec_lo, exec_lo, vcc_lo
	s_cbranch_execz .LBB23_6
; %bb.2:
	v_lshlrev_b64_e32 v[0:1], 1, v[4:5]
	s_load_b128 s[20:23], s[0:1], 0x48
	v_lshlrev_b64_e32 v[12:13], 3, v[4:5]
	s_add_nc_u64 s[0:1], s[0:1], 0x58
	v_lshlrev_b64_e32 v[6:7], 3, v[6:7]
	s_load_b32 s0, s[0:1], 0x4
	v_cvt_f64_u32_e32 v[1:2], v1
	v_cvt_f64_u32_e32 v[8:9], v0
	v_add_co_u32 v12, s2, s10, v12
	s_wait_alu 0xf1ff
	v_add_co_ci_u32_e64 v13, null, s11, v13, s2
	s_wait_kmcnt 0x0
	s_mul_i32 s2, s0, s3
	s_wait_alu 0xfffe
	s_ashr_i32 s3, s2, 31
	s_wait_alu 0xfffe
	s_lshl_b64 s[2:3], s[2:3], 3
	s_delay_alu instid0(VALU_DEP_4) | instskip(NEXT) | instid1(VALU_DEP_1)
	v_ldexp_f64 v[0:1], v[1:2], 32
	v_add_f64_e32 v[0:1], v[0:1], v[8:9]
	s_delay_alu instid0(VALU_DEP_1) | instskip(NEXT) | instid1(VALU_DEP_1)
	v_add_f64_e64 v[0:1], s[22:23], -v[0:1]
	v_cmp_gt_f64_e32 vcc_lo, 0x10000000, v[0:1]
	v_cndmask_b32_e64 v2, 0, 0x100, vcc_lo
	s_delay_alu instid0(VALU_DEP_1) | instskip(NEXT) | instid1(VALU_DEP_1)
	v_ldexp_f64 v[2:3], v[0:1], v2
	v_rsq_f64_e32 v[0:1], v[2:3]
	s_delay_alu instid0(TRANS32_DEP_1) | instskip(SKIP_1) | instid1(VALU_DEP_1)
	v_mul_f64_e32 v[8:9], v[2:3], v[0:1]
	v_mul_f64_e32 v[0:1], 0.5, v[0:1]
	v_fma_f64 v[10:11], -v[0:1], v[8:9], 0.5
	s_delay_alu instid0(VALU_DEP_1) | instskip(SKIP_1) | instid1(VALU_DEP_2)
	v_fma_f64 v[8:9], v[8:9], v[10:11], v[8:9]
	v_fma_f64 v[0:1], v[0:1], v[10:11], v[0:1]
	v_fma_f64 v[10:11], -v[8:9], v[8:9], v[2:3]
	s_delay_alu instid0(VALU_DEP_1) | instskip(NEXT) | instid1(VALU_DEP_1)
	v_fma_f64 v[8:9], v[10:11], v[0:1], v[8:9]
	v_fma_f64 v[10:11], -v[8:9], v[8:9], v[2:3]
	s_delay_alu instid0(VALU_DEP_1)
	v_fma_f64 v[8:9], v[10:11], v[0:1], v[8:9]
	v_cndmask_b32_e64 v10, 0, 0xffffff80, vcc_lo
	v_cmp_class_f64_e64 vcc_lo, v[2:3], 0x260
	global_load_b64 v[0:1], v[12:13], off
	v_mul_lo_u32 v12, v5, s12
	v_mul_lo_u32 v13, v4, s13
	v_ldexp_f64 v[8:9], v[8:9], v10
	v_mad_co_u64_u32 v[10:11], null, v4, s12, 0
	s_delay_alu instid0(VALU_DEP_1) | instskip(SKIP_1) | instid1(VALU_DEP_3)
	v_add3_u32 v11, v11, v13, v12
	s_wait_alu 0xfffd
	v_dual_cndmask_b32 v3, v9, v3 :: v_dual_cndmask_b32 v2, v8, v2
	s_delay_alu instid0(VALU_DEP_1) | instskip(NEXT) | instid1(VALU_DEP_3)
	v_add_f64_e64 v[8:9], s[20:21], -v[2:3]
	v_lshlrev_b64_e32 v[2:3], 3, v[10:11]
	s_delay_alu instid0(VALU_DEP_1) | instskip(SKIP_1) | instid1(VALU_DEP_2)
	v_add_co_u32 v2, vcc_lo, s6, v2
	s_wait_alu 0xfffd
	v_add_co_ci_u32_e64 v3, null, s7, v3, vcc_lo
	s_lshl_b64 s[6:7], s[16:17], 3
	global_load_b64 v[2:3], v[2:3], off
	v_trunc_f64_e32 v[8:9], v[8:9]
	s_delay_alu instid0(VALU_DEP_1) | instskip(NEXT) | instid1(VALU_DEP_1)
	v_ldexp_f64 v[10:11], v[8:9], 0xffffffe0
	v_floor_f64_e32 v[10:11], v[10:11]
	s_delay_alu instid0(VALU_DEP_1) | instskip(NEXT) | instid1(VALU_DEP_1)
	v_fma_f64 v[8:9], 0xc1f00000, v[10:11], v[8:9]
	v_cvt_u32_f64_e32 v8, v[8:9]
	v_cvt_i32_f64_e32 v9, v[10:11]
	s_delay_alu instid0(VALU_DEP_2) | instskip(SKIP_1) | instid1(VALU_DEP_2)
	v_add_co_u32 v17, vcc_lo, v8, 1
	s_wait_alu 0xfffd
	v_add_co_ci_u32_e64 v18, null, 0, v9, vcc_lo
	v_mul_lo_u32 v19, s16, v9
	s_delay_alu instid0(VALU_DEP_3) | instskip(NEXT) | instid1(VALU_DEP_3)
	v_mad_co_u64_u32 v[10:11], null, v17, v8, 0
	v_mul_lo_u32 v12, v18, v8
	v_mul_lo_u32 v13, v17, v9
	;; [unrolled: 1-line block ×5, first 2 shown]
	v_sub_co_u32 v23, vcc_lo, s14, v8
	s_wait_alu 0xfffd
	v_sub_co_ci_u32_e64 v24, null, s15, v9, vcc_lo
	v_add3_u32 v16, v11, v13, v12
	v_mad_co_u64_u32 v[11:12], null, s16, v8, 0
	v_mad_co_u64_u32 v[13:14], null, s14, v8, 0
	s_delay_alu instid0(VALU_DEP_3) | instskip(SKIP_2) | instid1(VALU_DEP_4)
	v_lshrrev_b32_e32 v15, 31, v16
	s_wait_loadcnt 0x1
	v_cmp_neq_f64_e64 s0, 0, v[0:1]
	v_add3_u32 v12, v12, v19, v21
	s_delay_alu instid0(VALU_DEP_3) | instskip(SKIP_4) | instid1(VALU_DEP_3)
	v_add_co_u32 v15, vcc_lo, v10, v15
	s_wait_alu 0xfffd
	v_add_co_ci_u32_e64 v16, null, 0, v16, vcc_lo
	v_add3_u32 v19, v14, v20, v22
	v_add_co_u32 v23, vcc_lo, v23, -2
	v_ashrrev_i64 v[14:15], 1, v[15:16]
	s_wait_alu 0xfffd
	v_add_co_ci_u32_e64 v10, null, -1, v24, vcc_lo
	v_sub_co_u32 v4, vcc_lo, v4, v13
	s_wait_alu 0xfffd
	v_sub_co_ci_u32_e64 v5, null, v5, v19, vcc_lo
	s_delay_alu instid0(VALU_DEP_3) | instskip(NEXT) | instid1(VALU_DEP_3)
	v_mul_lo_u32 v19, v10, s14
	v_add_co_u32 v13, vcc_lo, v14, v4
	s_wait_alu 0xfffd
	s_delay_alu instid0(VALU_DEP_3) | instskip(SKIP_1) | instid1(VALU_DEP_3)
	v_add_co_ci_u32_e64 v14, null, v15, v5, vcc_lo
	v_lshlrev_b64_e32 v[4:5], 3, v[11:12]
	v_add_co_u32 v10, vcc_lo, v17, v13
	s_wait_alu 0xfffd
	s_delay_alu instid0(VALU_DEP_3)
	v_add_co_ci_u32_e64 v11, null, v18, v14, vcc_lo
	v_mul_lo_u32 v16, v13, s15
	v_mul_lo_u32 v17, v14, s14
	v_mad_co_u64_u32 v[8:9], null, v13, s14, v[8:9]
	v_mul_lo_u32 v20, v23, s15
	v_mad_co_u64_u32 v[14:15], null, v23, s14, v[10:11]
	v_mul_lo_u32 v18, v11, s16
	v_mul_lo_u32 v21, v10, s17
	v_mad_co_u64_u32 v[10:11], null, v10, s16, 0
	v_add3_u32 v9, v17, v9, v16
	v_mul_lo_u32 v22, v8, s17
	v_mad_co_u64_u32 v[16:17], null, v8, s16, 0
	v_add_co_u32 v12, vcc_lo, s8, v4
	s_delay_alu instid0(VALU_DEP_4) | instskip(SKIP_4) | instid1(VALU_DEP_4)
	v_mul_lo_u32 v8, v9, s16
	v_add3_u32 v9, v19, v15, v20
	v_add3_u32 v11, v11, v21, v18
	v_mul_lo_u32 v15, s17, v14
	v_mad_co_u64_u32 v[18:19], null, s16, v14, 0
	v_mul_lo_u32 v14, s16, v9
	s_wait_alu 0xfffd
	v_add_co_ci_u32_e64 v13, null, s9, v5, vcc_lo
	v_lshlrev_b64_e32 v[10:11], 3, v[10:11]
	v_add3_u32 v17, v17, v22, v8
	s_wait_alu 0xfffe
	v_add_co_u32 v4, vcc_lo, v12, s6
	s_wait_alu 0xfffd
	v_add_co_ci_u32_e64 v5, null, s7, v13, vcc_lo
	v_add3_u32 v19, v19, v14, v15
	v_add_co_u32 v8, vcc_lo, v12, v6
	s_wait_alu 0xfffd
	v_add_co_ci_u32_e64 v9, null, v13, v7, vcc_lo
	v_lshlrev_b64_e32 v[16:17], 3, v[16:17]
	v_add_co_u32 v14, vcc_lo, s8, v10
	s_wait_alu 0xfffd
	v_add_co_ci_u32_e64 v15, null, s9, v11, vcc_lo
	v_lshlrev_b64_e32 v[10:11], 3, v[18:19]
	s_delay_alu instid0(VALU_DEP_4) | instskip(SKIP_2) | instid1(VALU_DEP_3)
	v_add_co_u32 v16, vcc_lo, s4, v16
	s_wait_alu 0xfffd
	v_add_co_ci_u32_e64 v17, null, s5, v17, vcc_lo
	v_add_co_u32 v18, vcc_lo, s4, v10
	s_wait_alu 0xfffd
	v_add_co_ci_u32_e64 v19, null, s5, v11, vcc_lo
	s_mov_b32 s4, 0
	s_branch .LBB23_4
.LBB23_3:                               ;   in Loop: Header=BB23_4 Depth=1
	s_wait_alu 0xfffe
	s_or_b32 exec_lo, exec_lo, s1
	v_add_co_u32 v20, vcc_lo, v16, v6
	s_wait_alu 0xfffd
	v_add_co_ci_u32_e64 v21, null, v17, v7, vcc_lo
	v_add_co_u32 v8, vcc_lo, v8, s2
	s_wait_alu 0xfffd
	v_add_co_ci_u32_e64 v9, null, s3, v9, vcc_lo
	;; [unrolled: 3-line block ×3, first 2 shown]
	s_delay_alu instid0(VALU_DEP_3)
	v_cmp_ge_u64_e32 vcc_lo, v[8:9], v[4:5]
	v_add_co_u32 v6, s1, v6, s2
	global_store_b64 v[20:21], v[10:11], off
	v_xor_b32_e32 v11, 0x80000000, v11
	s_wait_alu 0xf1ff
	v_add_co_ci_u32_e64 v7, null, s3, v7, s1
	s_or_b32 s4, vcc_lo, s4
	global_store_b64 v[22:23], v[10:11], off
	s_wait_alu 0xfffe
	s_and_not1_b32 exec_lo, exec_lo, s4
	s_cbranch_execz .LBB23_6
.LBB23_4:                               ; =>This Inner Loop Header: Depth=1
	v_mov_b32_e32 v10, 0
	v_mov_b32_e32 v11, 0
	s_and_saveexec_b32 s1, s0
	s_cbranch_execz .LBB23_3
; %bb.5:                                ;   in Loop: Header=BB23_4 Depth=1
	v_add_co_u32 v10, vcc_lo, v12, v6
	s_wait_alu 0xfffd
	v_add_co_ci_u32_e64 v11, null, v13, v7, vcc_lo
	v_add_co_u32 v20, vcc_lo, v14, v6
	s_wait_alu 0xfffd
	v_add_co_ci_u32_e64 v21, null, v15, v7, vcc_lo
	s_clause 0x1
	global_load_b64 v[10:11], v[10:11], off
	global_load_b64 v[20:21], v[20:21], off
	s_wait_loadcnt 0x0
	v_add_f64_e64 v[10:11], v[10:11], -v[20:21]
	s_delay_alu instid0(VALU_DEP_1) | instskip(NEXT) | instid1(VALU_DEP_1)
	v_mul_f64_e32 v[10:11], v[2:3], v[10:11]
	v_div_scale_f64 v[20:21], null, v[0:1], v[0:1], v[10:11]
	s_delay_alu instid0(VALU_DEP_1) | instskip(NEXT) | instid1(TRANS32_DEP_1)
	v_rcp_f64_e32 v[22:23], v[20:21]
	v_fma_f64 v[24:25], -v[20:21], v[22:23], 1.0
	s_delay_alu instid0(VALU_DEP_1) | instskip(NEXT) | instid1(VALU_DEP_1)
	v_fma_f64 v[22:23], v[22:23], v[24:25], v[22:23]
	v_fma_f64 v[24:25], -v[20:21], v[22:23], 1.0
	s_delay_alu instid0(VALU_DEP_1) | instskip(SKIP_1) | instid1(VALU_DEP_1)
	v_fma_f64 v[22:23], v[22:23], v[24:25], v[22:23]
	v_div_scale_f64 v[24:25], vcc_lo, v[10:11], v[0:1], v[10:11]
	v_mul_f64_e32 v[26:27], v[24:25], v[22:23]
	s_delay_alu instid0(VALU_DEP_1) | instskip(SKIP_1) | instid1(VALU_DEP_1)
	v_fma_f64 v[20:21], -v[20:21], v[26:27], v[24:25]
	s_wait_alu 0xfffd
	v_div_fmas_f64 v[20:21], v[20:21], v[22:23], v[26:27]
	s_delay_alu instid0(VALU_DEP_1)
	v_div_fixup_f64 v[10:11], v[20:21], v[0:1], v[10:11]
	s_branch .LBB23_3
.LBB23_6:
	s_endpgm
	.section	.rodata,"a",@progbits
	.p2align	6, 0x0
	.amdhsa_kernel _ZN2at6native12_GLOBAL__N_131pdist_backward_kernel_cuda_implIdNS1_5distsIdE3twoEEEvPT_PKS6_S9_S9_llllS6_dd
		.amdhsa_group_segment_fixed_size 0
		.amdhsa_private_segment_fixed_size 0
		.amdhsa_kernarg_size 344
		.amdhsa_user_sgpr_count 2
		.amdhsa_user_sgpr_dispatch_ptr 0
		.amdhsa_user_sgpr_queue_ptr 0
		.amdhsa_user_sgpr_kernarg_segment_ptr 1
		.amdhsa_user_sgpr_dispatch_id 0
		.amdhsa_user_sgpr_private_segment_size 0
		.amdhsa_wavefront_size32 1
		.amdhsa_uses_dynamic_stack 0
		.amdhsa_enable_private_segment 0
		.amdhsa_system_sgpr_workgroup_id_x 1
		.amdhsa_system_sgpr_workgroup_id_y 1
		.amdhsa_system_sgpr_workgroup_id_z 0
		.amdhsa_system_sgpr_workgroup_info 0
		.amdhsa_system_vgpr_workitem_id 1
		.amdhsa_next_free_vgpr 28
		.amdhsa_next_free_sgpr 24
		.amdhsa_reserve_vcc 1
		.amdhsa_float_round_mode_32 0
		.amdhsa_float_round_mode_16_64 0
		.amdhsa_float_denorm_mode_32 3
		.amdhsa_float_denorm_mode_16_64 3
		.amdhsa_fp16_overflow 0
		.amdhsa_workgroup_processor_mode 1
		.amdhsa_memory_ordered 1
		.amdhsa_forward_progress 1
		.amdhsa_inst_pref_size 12
		.amdhsa_round_robin_scheduling 0
		.amdhsa_exception_fp_ieee_invalid_op 0
		.amdhsa_exception_fp_denorm_src 0
		.amdhsa_exception_fp_ieee_div_zero 0
		.amdhsa_exception_fp_ieee_overflow 0
		.amdhsa_exception_fp_ieee_underflow 0
		.amdhsa_exception_fp_ieee_inexact 0
		.amdhsa_exception_int_div_zero 0
	.end_amdhsa_kernel
	.section	.text._ZN2at6native12_GLOBAL__N_131pdist_backward_kernel_cuda_implIdNS1_5distsIdE3twoEEEvPT_PKS6_S9_S9_llllS6_dd,"axG",@progbits,_ZN2at6native12_GLOBAL__N_131pdist_backward_kernel_cuda_implIdNS1_5distsIdE3twoEEEvPT_PKS6_S9_S9_llllS6_dd,comdat
.Lfunc_end23:
	.size	_ZN2at6native12_GLOBAL__N_131pdist_backward_kernel_cuda_implIdNS1_5distsIdE3twoEEEvPT_PKS6_S9_S9_llllS6_dd, .Lfunc_end23-_ZN2at6native12_GLOBAL__N_131pdist_backward_kernel_cuda_implIdNS1_5distsIdE3twoEEEvPT_PKS6_S9_S9_llllS6_dd
                                        ; -- End function
	.set _ZN2at6native12_GLOBAL__N_131pdist_backward_kernel_cuda_implIdNS1_5distsIdE3twoEEEvPT_PKS6_S9_S9_llllS6_dd.num_vgpr, 28
	.set _ZN2at6native12_GLOBAL__N_131pdist_backward_kernel_cuda_implIdNS1_5distsIdE3twoEEEvPT_PKS6_S9_S9_llllS6_dd.num_agpr, 0
	.set _ZN2at6native12_GLOBAL__N_131pdist_backward_kernel_cuda_implIdNS1_5distsIdE3twoEEEvPT_PKS6_S9_S9_llllS6_dd.numbered_sgpr, 24
	.set _ZN2at6native12_GLOBAL__N_131pdist_backward_kernel_cuda_implIdNS1_5distsIdE3twoEEEvPT_PKS6_S9_S9_llllS6_dd.num_named_barrier, 0
	.set _ZN2at6native12_GLOBAL__N_131pdist_backward_kernel_cuda_implIdNS1_5distsIdE3twoEEEvPT_PKS6_S9_S9_llllS6_dd.private_seg_size, 0
	.set _ZN2at6native12_GLOBAL__N_131pdist_backward_kernel_cuda_implIdNS1_5distsIdE3twoEEEvPT_PKS6_S9_S9_llllS6_dd.uses_vcc, 1
	.set _ZN2at6native12_GLOBAL__N_131pdist_backward_kernel_cuda_implIdNS1_5distsIdE3twoEEEvPT_PKS6_S9_S9_llllS6_dd.uses_flat_scratch, 0
	.set _ZN2at6native12_GLOBAL__N_131pdist_backward_kernel_cuda_implIdNS1_5distsIdE3twoEEEvPT_PKS6_S9_S9_llllS6_dd.has_dyn_sized_stack, 0
	.set _ZN2at6native12_GLOBAL__N_131pdist_backward_kernel_cuda_implIdNS1_5distsIdE3twoEEEvPT_PKS6_S9_S9_llllS6_dd.has_recursion, 0
	.set _ZN2at6native12_GLOBAL__N_131pdist_backward_kernel_cuda_implIdNS1_5distsIdE3twoEEEvPT_PKS6_S9_S9_llllS6_dd.has_indirect_call, 0
	.section	.AMDGPU.csdata,"",@progbits
; Kernel info:
; codeLenInByte = 1512
; TotalNumSgprs: 26
; NumVgprs: 28
; ScratchSize: 0
; MemoryBound: 0
; FloatMode: 240
; IeeeMode: 1
; LDSByteSize: 0 bytes/workgroup (compile time only)
; SGPRBlocks: 0
; VGPRBlocks: 3
; NumSGPRsForWavesPerEU: 26
; NumVGPRsForWavesPerEU: 28
; Occupancy: 16
; WaveLimiterHint : 0
; COMPUTE_PGM_RSRC2:SCRATCH_EN: 0
; COMPUTE_PGM_RSRC2:USER_SGPR: 2
; COMPUTE_PGM_RSRC2:TRAP_HANDLER: 0
; COMPUTE_PGM_RSRC2:TGID_X_EN: 1
; COMPUTE_PGM_RSRC2:TGID_Y_EN: 1
; COMPUTE_PGM_RSRC2:TGID_Z_EN: 0
; COMPUTE_PGM_RSRC2:TIDIG_COMP_CNT: 1
	.section	.text._ZN2at6native12_GLOBAL__N_131pdist_backward_kernel_cuda_implIdNS1_5distsIdE3infEEEvPT_PKS6_S9_S9_llllS6_dd,"axG",@progbits,_ZN2at6native12_GLOBAL__N_131pdist_backward_kernel_cuda_implIdNS1_5distsIdE3infEEEvPT_PKS6_S9_S9_llllS6_dd,comdat
	.globl	_ZN2at6native12_GLOBAL__N_131pdist_backward_kernel_cuda_implIdNS1_5distsIdE3infEEEvPT_PKS6_S9_S9_llllS6_dd ; -- Begin function _ZN2at6native12_GLOBAL__N_131pdist_backward_kernel_cuda_implIdNS1_5distsIdE3infEEEvPT_PKS6_S9_S9_llllS6_dd
	.p2align	8
	.type	_ZN2at6native12_GLOBAL__N_131pdist_backward_kernel_cuda_implIdNS1_5distsIdE3infEEEvPT_PKS6_S9_S9_llllS6_dd,@function
_ZN2at6native12_GLOBAL__N_131pdist_backward_kernel_cuda_implIdNS1_5distsIdE3infEEEvPT_PKS6_S9_S9_llllS6_dd: ; @_ZN2at6native12_GLOBAL__N_131pdist_backward_kernel_cuda_implIdNS1_5distsIdE3infEEEvPT_PKS6_S9_S9_llllS6_dd
; %bb.0:
	s_clause 0x1
	s_load_b32 s2, s[0:1], 0x64
	s_load_b512 s[4:19], s[0:1], 0x0
	v_dual_mov_b32 v2, 0 :: v_dual_and_b32 v1, 0x3ff, v0
	s_wait_kmcnt 0x0
	s_and_b32 s3, s2, 0xffff
	s_delay_alu instid0(VALU_DEP_1) | instid1(SALU_CYCLE_1)
	v_mad_co_u64_u32 v[6:7], null, s3, ttmp9, v[1:2]
	s_mov_b32 s3, exec_lo
	v_cmpx_gt_i64_e64 s[18:19], v[6:7]
	s_cbranch_execz .LBB24_4
; %bb.1:
	v_bfe_u32 v0, v0, 10, 10
	s_lshr_b32 s2, s2, 16
	s_wait_alu 0xfffe
	s_delay_alu instid0(VALU_DEP_1) | instskip(NEXT) | instid1(VALU_DEP_1)
	v_mad_co_u64_u32 v[4:5], null, ttmp7, s2, v[0:1]
	v_ashrrev_i32_e32 v5, 31, v4
	s_delay_alu instid0(VALU_DEP_1)
	v_cmp_gt_i64_e32 vcc_lo, s[16:17], v[4:5]
	s_and_b32 exec_lo, exec_lo, vcc_lo
	s_cbranch_execz .LBB24_4
; %bb.2:
	v_lshlrev_b64_e32 v[0:1], 1, v[6:7]
	s_load_b128 s[20:23], s[0:1], 0x48
	s_add_nc_u64 s[0:1], s[0:1], 0x58
	v_lshlrev_b64_e32 v[4:5], 3, v[4:5]
	s_delay_alu instid0(VALU_DEP_2) | instskip(NEXT) | instid1(VALU_DEP_3)
	v_cvt_f64_u32_e32 v[1:2], v1
	v_cvt_f64_u32_e32 v[8:9], v0
	s_delay_alu instid0(VALU_DEP_2) | instskip(NEXT) | instid1(VALU_DEP_1)
	v_ldexp_f64 v[0:1], v[1:2], 32
	v_add_f64_e32 v[0:1], v[0:1], v[8:9]
	s_wait_kmcnt 0x0
	s_delay_alu instid0(VALU_DEP_1) | instskip(NEXT) | instid1(VALU_DEP_1)
	v_add_f64_e64 v[0:1], s[22:23], -v[0:1]
	v_cmp_gt_f64_e32 vcc_lo, 0x10000000, v[0:1]
	v_cndmask_b32_e64 v2, 0, 0x100, vcc_lo
	s_delay_alu instid0(VALU_DEP_1) | instskip(NEXT) | instid1(VALU_DEP_1)
	v_ldexp_f64 v[0:1], v[0:1], v2
	v_rsq_f64_e32 v[2:3], v[0:1]
	s_delay_alu instid0(TRANS32_DEP_1) | instskip(SKIP_1) | instid1(VALU_DEP_1)
	v_mul_f64_e32 v[8:9], v[0:1], v[2:3]
	v_mul_f64_e32 v[2:3], 0.5, v[2:3]
	v_fma_f64 v[10:11], -v[2:3], v[8:9], 0.5
	s_delay_alu instid0(VALU_DEP_1) | instskip(SKIP_1) | instid1(VALU_DEP_2)
	v_fma_f64 v[8:9], v[8:9], v[10:11], v[8:9]
	v_fma_f64 v[2:3], v[2:3], v[10:11], v[2:3]
	v_fma_f64 v[10:11], -v[8:9], v[8:9], v[0:1]
	s_delay_alu instid0(VALU_DEP_1) | instskip(NEXT) | instid1(VALU_DEP_1)
	v_fma_f64 v[8:9], v[10:11], v[2:3], v[8:9]
	v_fma_f64 v[10:11], -v[8:9], v[8:9], v[0:1]
	s_delay_alu instid0(VALU_DEP_1) | instskip(SKIP_4) | instid1(VALU_DEP_4)
	v_fma_f64 v[2:3], v[10:11], v[2:3], v[8:9]
	v_cndmask_b32_e64 v8, 0, 0xffffff80, vcc_lo
	v_cmp_class_f64_e64 vcc_lo, v[0:1], 0x260
	v_mul_lo_u32 v10, v7, s12
	v_mul_lo_u32 v11, v6, s13
	v_ldexp_f64 v[2:3], v[2:3], v8
	v_mad_co_u64_u32 v[8:9], null, v6, s12, 0
	s_delay_alu instid0(VALU_DEP_1) | instskip(SKIP_1) | instid1(VALU_DEP_3)
	v_add3_u32 v9, v9, v11, v10
	s_wait_alu 0xfffd
	v_dual_cndmask_b32 v1, v3, v1 :: v_dual_cndmask_b32 v0, v2, v0
	v_lshlrev_b64_e32 v[2:3], 3, v[6:7]
	s_delay_alu instid0(VALU_DEP_2) | instskip(SKIP_1) | instid1(VALU_DEP_3)
	v_add_f64_e64 v[10:11], s[20:21], -v[0:1]
	v_lshlrev_b64_e32 v[0:1], 3, v[8:9]
	v_add_co_u32 v2, vcc_lo, s10, v2
	s_wait_alu 0xfffd
	s_delay_alu instid0(VALU_DEP_4) | instskip(NEXT) | instid1(VALU_DEP_3)
	v_add_co_ci_u32_e64 v3, null, s11, v3, vcc_lo
	v_add_co_u32 v8, vcc_lo, s6, v0
	s_wait_alu 0xfffd
	v_add_co_ci_u32_e64 v9, null, s7, v1, vcc_lo
	global_load_b64 v[0:1], v[2:3], off
	global_load_b64 v[2:3], v[8:9], off
	s_load_b32 s3, s[0:1], 0x4
	s_lshl_b64 s[0:1], s[16:17], 3
	s_wait_kmcnt 0x0
	s_mul_i32 s2, s3, s2
	s_wait_alu 0xfffe
	s_ashr_i32 s3, s2, 31
	v_trunc_f64_e32 v[8:9], v[10:11]
	s_wait_alu 0xfffe
	s_lshl_b64 s[2:3], s[2:3], 3
	s_delay_alu instid0(VALU_DEP_1) | instskip(NEXT) | instid1(VALU_DEP_1)
	v_ldexp_f64 v[10:11], v[8:9], 0xffffffe0
	v_floor_f64_e32 v[10:11], v[10:11]
	s_delay_alu instid0(VALU_DEP_1) | instskip(SKIP_1) | instid1(VALU_DEP_2)
	v_fma_f64 v[8:9], 0xc1f00000, v[10:11], v[8:9]
	v_cvt_i32_f64_e32 v10, v[10:11]
	v_cvt_u32_f64_e32 v9, v[8:9]
	s_delay_alu instid0(VALU_DEP_2) | instskip(SKIP_2) | instid1(VALU_DEP_4)
	v_mul_lo_u32 v20, s16, v10
	v_mul_lo_u32 v21, s14, v10
	v_mov_b32_e32 v8, 0
	v_add_co_u32 v18, vcc_lo, v9, 1
	s_wait_alu 0xfffd
	v_add_co_ci_u32_e64 v19, null, 0, v10, vcc_lo
	v_mul_lo_u32 v22, s17, v9
	s_delay_alu instid0(VALU_DEP_3) | instskip(NEXT) | instid1(VALU_DEP_3)
	v_mad_co_u64_u32 v[11:12], null, v18, v9, 0
	v_mul_lo_u32 v13, v19, v9
	v_mul_lo_u32 v14, v18, v10
	;; [unrolled: 1-line block ×3, first 2 shown]
	v_sub_co_u32 v24, vcc_lo, s14, v9
	s_wait_alu 0xfffd
	v_sub_co_ci_u32_e64 v25, null, s15, v10, vcc_lo
	s_delay_alu instid0(VALU_DEP_4) | instskip(SKIP_2) | instid1(VALU_DEP_3)
	v_add3_u32 v17, v12, v14, v13
	v_mad_co_u64_u32 v[12:13], null, s16, v9, 0
	v_mad_co_u64_u32 v[14:15], null, s14, v9, 0
	v_lshrrev_b32_e32 v16, 31, v17
	s_delay_alu instid0(VALU_DEP_3) | instskip(NEXT) | instid1(VALU_DEP_2)
	v_add3_u32 v13, v13, v20, v22
	v_add_co_u32 v16, vcc_lo, v11, v16
	s_wait_alu 0xfffd
	v_add_co_ci_u32_e64 v17, null, 0, v17, vcc_lo
	v_add3_u32 v20, v15, v21, v23
	v_add_co_u32 v11, vcc_lo, v24, -2
	s_delay_alu instid0(VALU_DEP_3)
	v_ashrrev_i64 v[15:16], 1, v[16:17]
	s_wait_alu 0xfffd
	v_add_co_ci_u32_e64 v24, null, -1, v25, vcc_lo
	v_sub_co_u32 v6, vcc_lo, v6, v14
	s_wait_alu 0xfffd
	v_sub_co_ci_u32_e64 v7, null, v7, v20, vcc_lo
	v_mul_lo_u32 v21, v11, s15
	s_delay_alu instid0(VALU_DEP_3) | instskip(SKIP_1) | instid1(VALU_DEP_3)
	v_add_co_u32 v17, vcc_lo, v15, v6
	s_wait_alu 0xfffd
	v_add_co_ci_u32_e64 v16, null, v16, v7, vcc_lo
	v_mul_lo_u32 v20, v24, s14
	s_delay_alu instid0(VALU_DEP_3) | instskip(SKIP_1) | instid1(VALU_DEP_3)
	v_add_co_u32 v14, vcc_lo, v18, v17
	s_wait_alu 0xfffd
	v_add_co_ci_u32_e64 v15, null, v19, v16, vcc_lo
	v_mul_lo_u32 v18, v17, s15
	v_mul_lo_u32 v19, v16, s14
	v_mad_co_u64_u32 v[9:10], null, v17, s14, v[9:10]
	s_delay_alu instid0(VALU_DEP_4)
	v_mad_co_u64_u32 v[16:17], null, v11, s14, v[14:15]
	v_mul_lo_u32 v11, v15, s16
	v_mul_lo_u32 v22, v14, s17
	v_mad_co_u64_u32 v[14:15], null, v14, s16, 0
	v_add3_u32 v10, v19, v10, v18
	v_mul_lo_u32 v23, v9, s17
	v_mad_co_u64_u32 v[18:19], null, v9, s16, 0
	v_lshlrev_b64_e32 v[6:7], 3, v[12:13]
	s_delay_alu instid0(VALU_DEP_4) | instskip(SKIP_4) | instid1(VALU_DEP_4)
	v_mul_lo_u32 v9, v10, s16
	v_add3_u32 v10, v20, v17, v21
	v_mul_lo_u32 v20, s17, v16
	v_mad_co_u64_u32 v[16:17], null, s16, v16, 0
	v_add3_u32 v15, v15, v22, v11
	v_mul_lo_u32 v21, s16, v10
	v_add_co_u32 v12, vcc_lo, s8, v6
	v_add3_u32 v19, v19, v23, v9
	s_wait_alu 0xfffd
	v_add_co_ci_u32_e64 v13, null, s9, v7, vcc_lo
	v_lshlrev_b64_e32 v[14:15], 3, v[14:15]
	v_add_co_u32 v6, vcc_lo, v12, s0
	v_add3_u32 v17, v17, v21, v20
	v_lshlrev_b64_e32 v[18:19], 3, v[18:19]
	s_wait_alu 0xfffd
	v_add_co_ci_u32_e64 v7, null, s1, v13, vcc_lo
	v_add_co_u32 v10, vcc_lo, v12, v4
	v_lshlrev_b64_e32 v[20:21], 3, v[16:17]
	s_wait_alu 0xfffd
	v_add_co_ci_u32_e64 v11, null, v13, v5, vcc_lo
	v_add_co_u32 v14, vcc_lo, s8, v14
	s_wait_alu 0xfffd
	v_add_co_ci_u32_e64 v15, null, s9, v15, vcc_lo
	v_add_co_u32 v16, vcc_lo, s4, v18
	;; [unrolled: 3-line block ×3, first 2 shown]
	s_wait_alu 0xfffd
	v_add_co_ci_u32_e64 v19, null, s5, v21, vcc_lo
	s_mov_b32 s1, 0
.LBB24_3:                               ; =>This Inner Loop Header: Depth=1
	v_add_co_u32 v20, vcc_lo, v12, v4
	s_wait_alu 0xfffd
	v_add_co_ci_u32_e64 v21, null, v13, v5, vcc_lo
	v_add_co_u32 v22, vcc_lo, v14, v4
	s_wait_alu 0xfffd
	v_add_co_ci_u32_e64 v23, null, v15, v5, vcc_lo
	s_clause 0x1
	global_load_b64 v[20:21], v[20:21], off
	global_load_b64 v[22:23], v[22:23], off
	s_wait_loadcnt 0x0
	v_add_f64_e64 v[20:21], v[20:21], -v[22:23]
	s_delay_alu instid0(VALU_DEP_1)
	v_cmp_lt_f64_e32 vcc_lo, 0, v[20:21]
	v_cmp_eq_f64_e64 s0, |v[20:21]|, v[0:1]
	s_wait_alu 0xfffd
	v_cndmask_b32_e64 v9, 0, 1, vcc_lo
	v_cmp_gt_f64_e32 vcc_lo, 0, v[20:21]
	s_wait_alu 0xfffd
	s_delay_alu instid0(VALU_DEP_2) | instskip(NEXT) | instid1(VALU_DEP_1)
	v_subrev_co_ci_u32_e64 v9, null, 0, v9, vcc_lo
	v_cvt_f64_i32_e32 v[22:23], v9
	s_wait_alu 0xf1ff
	v_cndmask_b32_e64 v9, 0, 0x3ff00000, s0
	s_delay_alu instid0(VALU_DEP_2) | instskip(NEXT) | instid1(VALU_DEP_1)
	v_mul_f64_e32 v[22:23], v[2:3], v[22:23]
	v_mul_f64_e32 v[20:21], v[22:23], v[8:9]
	v_add_co_u32 v22, vcc_lo, v16, v4
	s_wait_alu 0xfffd
	v_add_co_ci_u32_e64 v23, null, v17, v5, vcc_lo
	s_wait_alu 0xfffe
	v_add_co_u32 v10, vcc_lo, v10, s2
	s_wait_alu 0xfffd
	v_add_co_ci_u32_e64 v11, null, s3, v11, vcc_lo
	v_add_co_u32 v24, vcc_lo, v18, v4
	s_wait_alu 0xfffd
	v_add_co_ci_u32_e64 v25, null, v19, v5, vcc_lo
	s_delay_alu instid0(VALU_DEP_3)
	v_cmp_ge_u64_e64 s0, v[10:11], v[6:7]
	v_add_co_u32 v4, vcc_lo, v4, s2
	s_wait_alu 0xfffd
	v_add_co_ci_u32_e64 v5, null, s3, v5, vcc_lo
	s_or_b32 s1, s0, s1
	global_store_b64 v[22:23], v[20:21], off
	v_xor_b32_e32 v21, 0x80000000, v21
	global_store_b64 v[24:25], v[20:21], off
	s_wait_alu 0xfffe
	s_and_not1_b32 exec_lo, exec_lo, s1
	s_cbranch_execnz .LBB24_3
.LBB24_4:
	s_endpgm
	.section	.rodata,"a",@progbits
	.p2align	6, 0x0
	.amdhsa_kernel _ZN2at6native12_GLOBAL__N_131pdist_backward_kernel_cuda_implIdNS1_5distsIdE3infEEEvPT_PKS6_S9_S9_llllS6_dd
		.amdhsa_group_segment_fixed_size 0
		.amdhsa_private_segment_fixed_size 0
		.amdhsa_kernarg_size 344
		.amdhsa_user_sgpr_count 2
		.amdhsa_user_sgpr_dispatch_ptr 0
		.amdhsa_user_sgpr_queue_ptr 0
		.amdhsa_user_sgpr_kernarg_segment_ptr 1
		.amdhsa_user_sgpr_dispatch_id 0
		.amdhsa_user_sgpr_private_segment_size 0
		.amdhsa_wavefront_size32 1
		.amdhsa_uses_dynamic_stack 0
		.amdhsa_enable_private_segment 0
		.amdhsa_system_sgpr_workgroup_id_x 1
		.amdhsa_system_sgpr_workgroup_id_y 1
		.amdhsa_system_sgpr_workgroup_id_z 0
		.amdhsa_system_sgpr_workgroup_info 0
		.amdhsa_system_vgpr_workitem_id 1
		.amdhsa_next_free_vgpr 26
		.amdhsa_next_free_sgpr 24
		.amdhsa_reserve_vcc 1
		.amdhsa_float_round_mode_32 0
		.amdhsa_float_round_mode_16_64 0
		.amdhsa_float_denorm_mode_32 3
		.amdhsa_float_denorm_mode_16_64 3
		.amdhsa_fp16_overflow 0
		.amdhsa_workgroup_processor_mode 1
		.amdhsa_memory_ordered 1
		.amdhsa_forward_progress 1
		.amdhsa_inst_pref_size 12
		.amdhsa_round_robin_scheduling 0
		.amdhsa_exception_fp_ieee_invalid_op 0
		.amdhsa_exception_fp_denorm_src 0
		.amdhsa_exception_fp_ieee_div_zero 0
		.amdhsa_exception_fp_ieee_overflow 0
		.amdhsa_exception_fp_ieee_underflow 0
		.amdhsa_exception_fp_ieee_inexact 0
		.amdhsa_exception_int_div_zero 0
	.end_amdhsa_kernel
	.section	.text._ZN2at6native12_GLOBAL__N_131pdist_backward_kernel_cuda_implIdNS1_5distsIdE3infEEEvPT_PKS6_S9_S9_llllS6_dd,"axG",@progbits,_ZN2at6native12_GLOBAL__N_131pdist_backward_kernel_cuda_implIdNS1_5distsIdE3infEEEvPT_PKS6_S9_S9_llllS6_dd,comdat
.Lfunc_end24:
	.size	_ZN2at6native12_GLOBAL__N_131pdist_backward_kernel_cuda_implIdNS1_5distsIdE3infEEEvPT_PKS6_S9_S9_llllS6_dd, .Lfunc_end24-_ZN2at6native12_GLOBAL__N_131pdist_backward_kernel_cuda_implIdNS1_5distsIdE3infEEEvPT_PKS6_S9_S9_llllS6_dd
                                        ; -- End function
	.set _ZN2at6native12_GLOBAL__N_131pdist_backward_kernel_cuda_implIdNS1_5distsIdE3infEEEvPT_PKS6_S9_S9_llllS6_dd.num_vgpr, 26
	.set _ZN2at6native12_GLOBAL__N_131pdist_backward_kernel_cuda_implIdNS1_5distsIdE3infEEEvPT_PKS6_S9_S9_llllS6_dd.num_agpr, 0
	.set _ZN2at6native12_GLOBAL__N_131pdist_backward_kernel_cuda_implIdNS1_5distsIdE3infEEEvPT_PKS6_S9_S9_llllS6_dd.numbered_sgpr, 24
	.set _ZN2at6native12_GLOBAL__N_131pdist_backward_kernel_cuda_implIdNS1_5distsIdE3infEEEvPT_PKS6_S9_S9_llllS6_dd.num_named_barrier, 0
	.set _ZN2at6native12_GLOBAL__N_131pdist_backward_kernel_cuda_implIdNS1_5distsIdE3infEEEvPT_PKS6_S9_S9_llllS6_dd.private_seg_size, 0
	.set _ZN2at6native12_GLOBAL__N_131pdist_backward_kernel_cuda_implIdNS1_5distsIdE3infEEEvPT_PKS6_S9_S9_llllS6_dd.uses_vcc, 1
	.set _ZN2at6native12_GLOBAL__N_131pdist_backward_kernel_cuda_implIdNS1_5distsIdE3infEEEvPT_PKS6_S9_S9_llllS6_dd.uses_flat_scratch, 0
	.set _ZN2at6native12_GLOBAL__N_131pdist_backward_kernel_cuda_implIdNS1_5distsIdE3infEEEvPT_PKS6_S9_S9_llllS6_dd.has_dyn_sized_stack, 0
	.set _ZN2at6native12_GLOBAL__N_131pdist_backward_kernel_cuda_implIdNS1_5distsIdE3infEEEvPT_PKS6_S9_S9_llllS6_dd.has_recursion, 0
	.set _ZN2at6native12_GLOBAL__N_131pdist_backward_kernel_cuda_implIdNS1_5distsIdE3infEEEvPT_PKS6_S9_S9_llllS6_dd.has_indirect_call, 0
	.section	.AMDGPU.csdata,"",@progbits
; Kernel info:
; codeLenInByte = 1452
; TotalNumSgprs: 26
; NumVgprs: 26
; ScratchSize: 0
; MemoryBound: 0
; FloatMode: 240
; IeeeMode: 1
; LDSByteSize: 0 bytes/workgroup (compile time only)
; SGPRBlocks: 0
; VGPRBlocks: 3
; NumSGPRsForWavesPerEU: 26
; NumVGPRsForWavesPerEU: 26
; Occupancy: 16
; WaveLimiterHint : 0
; COMPUTE_PGM_RSRC2:SCRATCH_EN: 0
; COMPUTE_PGM_RSRC2:USER_SGPR: 2
; COMPUTE_PGM_RSRC2:TRAP_HANDLER: 0
; COMPUTE_PGM_RSRC2:TGID_X_EN: 1
; COMPUTE_PGM_RSRC2:TGID_Y_EN: 1
; COMPUTE_PGM_RSRC2:TGID_Z_EN: 0
; COMPUTE_PGM_RSRC2:TIDIG_COMP_CNT: 1
	.section	.text._ZN2at6native12_GLOBAL__N_131pdist_backward_kernel_cuda_implIfNS1_5distsIfE1pEEEvPT_PKS6_S9_S9_llllS6_dd,"axG",@progbits,_ZN2at6native12_GLOBAL__N_131pdist_backward_kernel_cuda_implIfNS1_5distsIfE1pEEEvPT_PKS6_S9_S9_llllS6_dd,comdat
	.globl	_ZN2at6native12_GLOBAL__N_131pdist_backward_kernel_cuda_implIfNS1_5distsIfE1pEEEvPT_PKS6_S9_S9_llllS6_dd ; -- Begin function _ZN2at6native12_GLOBAL__N_131pdist_backward_kernel_cuda_implIfNS1_5distsIfE1pEEEvPT_PKS6_S9_S9_llllS6_dd
	.p2align	8
	.type	_ZN2at6native12_GLOBAL__N_131pdist_backward_kernel_cuda_implIfNS1_5distsIfE1pEEEvPT_PKS6_S9_S9_llllS6_dd,@function
_ZN2at6native12_GLOBAL__N_131pdist_backward_kernel_cuda_implIfNS1_5distsIfE1pEEEvPT_PKS6_S9_S9_llllS6_dd: ; @_ZN2at6native12_GLOBAL__N_131pdist_backward_kernel_cuda_implIfNS1_5distsIfE1pEEEvPT_PKS6_S9_S9_llllS6_dd
; %bb.0:
	s_clause 0x1
	s_load_b32 s2, s[0:1], 0x64
	s_load_b512 s[4:19], s[0:1], 0x0
	v_dual_mov_b32 v2, 0 :: v_dual_and_b32 v1, 0x3ff, v0
	s_wait_kmcnt 0x0
	s_and_b32 s3, s2, 0xffff
	s_delay_alu instid0(VALU_DEP_1) | instid1(SALU_CYCLE_1)
	v_mad_co_u64_u32 v[1:2], null, s3, ttmp9, v[1:2]
	s_mov_b32 s3, exec_lo
	v_cmpx_gt_i64_e64 s[18:19], v[1:2]
	s_cbranch_execz .LBB25_6
; %bb.1:
	v_bfe_u32 v0, v0, 10, 10
	s_lshr_b32 s18, s2, 16
	s_wait_alu 0xfffe
	s_delay_alu instid0(VALU_DEP_1) | instskip(NEXT) | instid1(VALU_DEP_1)
	v_mad_co_u64_u32 v[3:4], null, ttmp7, s18, v[0:1]
	v_ashrrev_i32_e32 v4, 31, v3
	s_delay_alu instid0(VALU_DEP_1)
	v_cmp_gt_i64_e32 vcc_lo, s[16:17], v[3:4]
	s_and_b32 exec_lo, exec_lo, vcc_lo
	s_cbranch_execz .LBB25_6
; %bb.2:
	v_lshlrev_b64_e32 v[5:6], 1, v[1:2]
	v_lshlrev_b64_e32 v[8:9], 2, v[1:2]
	s_load_b128 s[20:23], s[0:1], 0x48
	v_mul_lo_u32 v22, v2, s12
	v_mul_lo_u32 v23, v1, s13
	v_lshlrev_b64_e32 v[3:4], 2, v[3:4]
	v_cvt_f64_u32_e32 v[6:7], v6
	v_cvt_f64_u32_e32 v[10:11], v5
	s_delay_alu instid0(VALU_DEP_2) | instskip(SKIP_1) | instid1(VALU_DEP_1)
	v_ldexp_f64 v[5:6], v[6:7], 32
	v_add_co_u32 v7, vcc_lo, s10, v8
	v_add_co_ci_u32_e64 v8, null, s11, v9, vcc_lo
	s_load_b32 s11, s[0:1], 0x40
	s_mov_b32 s10, 0x3e76c4e1
	s_add_nc_u64 s[0:1], s[0:1], 0x58
	global_load_b32 v0, v[7:8], off
	s_load_b32 s1, s[0:1], 0x4
	s_wait_kmcnt 0x0
	s_add_f32 s3, s11, -1.0
	v_add_f64_e32 v[5:6], v[5:6], v[10:11]
	s_delay_alu instid0(VALU_DEP_1) | instskip(NEXT) | instid1(VALU_DEP_1)
	v_add_f64_e64 v[5:6], s[22:23], -v[5:6]
	v_cmp_gt_f64_e32 vcc_lo, 0x10000000, v[5:6]
	s_wait_alu 0xfffd
	v_cndmask_b32_e64 v7, 0, 0x100, vcc_lo
	s_delay_alu instid0(VALU_DEP_1) | instskip(NEXT) | instid1(VALU_DEP_1)
	v_ldexp_f64 v[5:6], v[5:6], v7
	v_rsq_f64_e32 v[7:8], v[5:6]
	s_delay_alu instid0(TRANS32_DEP_1) | instskip(SKIP_1) | instid1(VALU_DEP_1)
	v_mul_f64_e32 v[9:10], v[5:6], v[7:8]
	v_mul_f64_e32 v[7:8], 0.5, v[7:8]
	v_fma_f64 v[11:12], -v[7:8], v[9:10], 0.5
	s_delay_alu instid0(VALU_DEP_1) | instskip(SKIP_4) | instid1(VALU_DEP_1)
	v_fma_f64 v[9:10], v[9:10], v[11:12], v[9:10]
	v_fma_f64 v[7:8], v[7:8], v[11:12], v[7:8]
	s_wait_loadcnt 0x0
	v_cmp_neq_f32_e64 s2, 1.0, v0
	s_wait_alu 0xf1fe
	v_cndmask_b32_e64 v13, 1.0, s3, s2
	s_delay_alu instid0(VALU_DEP_1) | instskip(SKIP_1) | instid1(VALU_DEP_1)
	v_cmp_neq_f32_e64 s2, 0, v13
	s_wait_alu 0xf1ff
	v_cndmask_b32_e64 v14, 1.0, v0, s2
	s_delay_alu instid0(VALU_DEP_1) | instskip(SKIP_1) | instid1(VALU_DEP_2)
	v_frexp_mant_f32_e64 v15, |v14|
	v_fma_f64 v[11:12], -v[9:10], v[9:10], v[5:6]
	v_cmp_gt_f32_e64 s2, 0x3f2aaaab, v15
	s_wait_alu 0xf1ff
	s_delay_alu instid0(VALU_DEP_1) | instskip(NEXT) | instid1(VALU_DEP_3)
	v_cndmask_b32_e64 v16, 1.0, 2.0, s2
	v_fma_f64 v[9:10], v[11:12], v[7:8], v[9:10]
	s_delay_alu instid0(VALU_DEP_2) | instskip(NEXT) | instid1(VALU_DEP_1)
	v_mul_f32_e32 v11, v15, v16
	v_add_f32_e32 v12, 1.0, v11
	v_add_f32_e32 v16, -1.0, v11
	s_delay_alu instid0(VALU_DEP_2) | instskip(NEXT) | instid1(VALU_DEP_1)
	v_add_f32_e32 v18, -1.0, v12
	v_sub_f32_e32 v11, v11, v18
	v_rcp_f32_e32 v15, v12
	s_delay_alu instid0(TRANS32_DEP_1) | instskip(NEXT) | instid1(VALU_DEP_1)
	v_mul_f32_e32 v17, v16, v15
	v_mul_f32_e32 v19, v12, v17
	s_delay_alu instid0(VALU_DEP_1) | instskip(NEXT) | instid1(VALU_DEP_1)
	v_fma_f32 v18, v17, v12, -v19
	v_fmac_f32_e32 v18, v17, v11
	v_fma_f64 v[11:12], -v[9:10], v[9:10], v[5:6]
	s_delay_alu instid0(VALU_DEP_2) | instskip(NEXT) | instid1(VALU_DEP_1)
	v_add_f32_e32 v20, v19, v18
	v_sub_f32_e32 v21, v16, v20
	v_sub_f32_e32 v19, v20, v19
	s_delay_alu instid0(VALU_DEP_2) | instskip(NEXT) | instid1(VALU_DEP_2)
	v_sub_f32_e32 v16, v16, v21
	v_sub_f32_e32 v18, v19, v18
	v_cndmask_b32_e64 v19, 0, 0xffffff80, vcc_lo
	v_cmp_class_f64_e64 vcc_lo, v[5:6], 0x260
	s_delay_alu instid0(VALU_DEP_4) | instskip(NEXT) | instid1(VALU_DEP_1)
	v_sub_f32_e32 v16, v16, v20
	v_add_f32_e32 v16, v18, v16
	s_delay_alu instid0(VALU_DEP_1) | instskip(NEXT) | instid1(VALU_DEP_1)
	v_add_f32_e32 v16, v21, v16
	v_mul_f32_e32 v15, v15, v16
	v_fma_f64 v[7:8], v[11:12], v[7:8], v[9:10]
	s_delay_alu instid0(VALU_DEP_2) | instskip(NEXT) | instid1(VALU_DEP_1)
	v_add_f32_e32 v16, v17, v15
	v_sub_f32_e32 v9, v16, v17
	v_mul_f32_e32 v11, v16, v16
	s_delay_alu instid0(VALU_DEP_2) | instskip(NEXT) | instid1(VALU_DEP_2)
	v_sub_f32_e32 v15, v15, v9
	v_fma_f32 v12, v16, v16, -v11
	s_delay_alu instid0(VALU_DEP_2) | instskip(NEXT) | instid1(VALU_DEP_1)
	v_add_f32_e32 v9, v15, v15
	v_fmac_f32_e32 v12, v16, v9
	v_cvt_f64_f32_e64 v[9:10], |v14|
	s_delay_alu instid0(VALU_DEP_2) | instskip(NEXT) | instid1(VALU_DEP_1)
	v_add_f32_e32 v17, v11, v12
	v_dual_fmaak_f32 v18, s10, v17, 0x3e91f4c4 :: v_dual_sub_f32 v11, v17, v11
	s_delay_alu instid0(VALU_DEP_1) | instskip(NEXT) | instid1(VALU_DEP_2)
	v_dual_mul_f32 v21, v16, v17 :: v_dual_fmaak_f32 v18, v17, v18, 0x3ecccdef
	v_sub_f32_e32 v20, v12, v11
	v_ldexp_f64 v[7:8], v[7:8], v19
	s_delay_alu instid0(VALU_DEP_3) | instskip(NEXT) | instid1(VALU_DEP_4)
	v_fma_f32 v24, v17, v16, -v21
	v_mul_f32_e32 v19, v17, v18
	s_delay_alu instid0(VALU_DEP_1) | instskip(NEXT) | instid1(VALU_DEP_1)
	v_fma_f32 v11, v17, v18, -v19
	v_fmac_f32_e32 v11, v20, v18
	s_delay_alu instid0(VALU_DEP_1) | instskip(SKIP_1) | instid1(VALU_DEP_2)
	v_add_f32_e32 v18, v19, v11
	v_frexp_exp_i32_f64_e32 v9, v[9:10]
	v_dual_sub_f32 v12, v18, v19 :: v_dual_add_f32 v19, 0x3f2aaaaa, v18
	s_delay_alu instid0(VALU_DEP_1) | instskip(SKIP_2) | instid1(VALU_DEP_3)
	v_dual_sub_f32 v25, v11, v12 :: v_dual_add_f32 v26, 0xbf2aaaaa, v19
	v_mad_co_u64_u32 v[11:12], null, v1, s12, 0
	v_fmac_f32_e32 v24, v17, v15
	v_dual_add_f32 v10, 0x31739010, v25 :: v_dual_sub_f32 v17, v18, v26
	v_ldexp_f32 v15, v15, 1
	s_mul_i32 s12, s1, s18
	s_wait_alu 0xfffd
	v_dual_cndmask_b32 v6, v8, v6 :: v_dual_cndmask_b32 v5, v7, v5
	v_add_f32_e32 v10, v10, v17
	v_fmac_f32_e32 v24, v20, v16
	v_add3_u32 v12, v12, v23, v22
	s_wait_alu 0xfffe
	s_ashr_i32 s13, s12, 31
	v_add_f64_e64 v[5:6], s[20:21], -v[5:6]
	v_dual_add_f32 v17, v19, v10 :: v_dual_add_f32 v18, v21, v24
	v_lshlrev_b64_e32 v[7:8], 2, v[11:12]
	s_delay_alu instid0(VALU_DEP_2) | instskip(NEXT) | instid1(VALU_DEP_3)
	v_sub_f32_e32 v11, v19, v17
	v_mul_f32_e32 v12, v18, v17
	v_sub_f32_e32 v19, v18, v21
	s_delay_alu instid0(VALU_DEP_4)
	v_add_co_u32 v7, vcc_lo, s6, v7
	s_wait_alu 0xfffd
	v_add_co_ci_u32_e64 v8, null, s7, v8, vcc_lo
	v_add_f32_e32 v10, v10, v11
	v_fma_f32 v11, v18, v17, -v12
	v_cmp_neq_f32_e64 s6, v13, |v13|
	global_load_b32 v7, v[7:8], off
	v_dual_sub_f32 v8, v24, v19 :: v_dual_fmac_f32 v11, v18, v10
	v_ldexp_f32 v10, v16, 1
	s_delay_alu instid0(VALU_DEP_2) | instskip(SKIP_1) | instid1(VALU_DEP_1)
	v_fmac_f32_e32 v11, v8, v17
	v_subrev_co_ci_u32_e64 v8, null, 0, v9, s2
	v_cvt_f32_i32_e32 v8, v8
	s_delay_alu instid0(VALU_DEP_1) | instskip(NEXT) | instid1(VALU_DEP_4)
	v_mul_f32_e32 v17, 0x3f317218, v8
	v_add_f32_e32 v9, v12, v11
	v_trunc_f64_e32 v[5:6], v[5:6]
	s_delay_alu instid0(VALU_DEP_2) | instskip(NEXT) | instid1(VALU_DEP_1)
	v_sub_f32_e32 v12, v9, v12
	v_dual_add_f32 v16, v10, v9 :: v_dual_sub_f32 v11, v11, v12
	s_delay_alu instid0(VALU_DEP_1) | instskip(SKIP_1) | instid1(VALU_DEP_2)
	v_sub_f32_e32 v10, v16, v10
	v_fma_f32 v12, 0x3f317218, v8, -v17
	v_dual_sub_f32 v9, v9, v10 :: v_dual_add_f32 v10, v15, v11
	s_delay_alu instid0(VALU_DEP_2) | instskip(NEXT) | instid1(VALU_DEP_2)
	v_fmac_f32_e32 v12, 0xb102e308, v8
	v_add_f32_e32 v8, v10, v9
	s_delay_alu instid0(VALU_DEP_1) | instskip(NEXT) | instid1(VALU_DEP_3)
	v_add_f32_e32 v11, v16, v8
	v_add_f32_e32 v10, v17, v12
	s_delay_alu instid0(VALU_DEP_1) | instskip(NEXT) | instid1(VALU_DEP_1)
	v_dual_sub_f32 v16, v11, v16 :: v_dual_add_f32 v15, v10, v11
	v_sub_f32_e32 v18, v15, v10
	s_delay_alu instid0(VALU_DEP_1) | instskip(SKIP_1) | instid1(VALU_DEP_4)
	v_sub_f32_e32 v11, v11, v18
	v_sub_f32_e32 v9, v10, v17
	v_dual_sub_f32 v17, v15, v18 :: v_dual_sub_f32 v16, v8, v16
	s_delay_alu instid0(VALU_DEP_2) | instskip(SKIP_1) | instid1(VALU_DEP_2)
	v_sub_f32_e32 v12, v12, v9
	v_ldexp_f64 v[8:9], v[5:6], 0xffffffe0
	v_dual_sub_f32 v10, v10, v17 :: v_dual_add_f32 v17, v12, v16
	s_delay_alu instid0(VALU_DEP_1) | instskip(NEXT) | instid1(VALU_DEP_1)
	v_add_f32_e32 v10, v11, v10
	v_add_f32_e32 v10, v17, v10
	s_delay_alu instid0(VALU_DEP_1) | instskip(NEXT) | instid1(VALU_DEP_1)
	v_add_f32_e32 v18, v15, v10
	v_sub_f32_e32 v15, v18, v15
	v_sub_f32_e32 v11, v17, v12
	s_delay_alu instid0(VALU_DEP_1) | instskip(SKIP_1) | instid1(VALU_DEP_2)
	v_sub_f32_e32 v17, v17, v11
	v_sub_f32_e32 v11, v16, v11
	;; [unrolled: 1-line block ×3, first 2 shown]
	s_delay_alu instid0(VALU_DEP_1) | instskip(SKIP_2) | instid1(VALU_DEP_1)
	v_add_f32_e32 v11, v11, v12
	v_floor_f64_e32 v[8:9], v[8:9]
	v_sub_f32_e32 v10, v10, v15
	v_add_f32_e32 v10, v11, v10
	s_delay_alu instid0(VALU_DEP_1) | instskip(NEXT) | instid1(VALU_DEP_1)
	v_add_f32_e32 v11, v18, v10
	v_dual_mul_f32 v15, v13, v11 :: v_dual_sub_f32 v12, v11, v18
	s_delay_alu instid0(VALU_DEP_1) | instskip(NEXT) | instid1(VALU_DEP_2)
	v_fma_f32 v11, v13, v11, -v15
	v_sub_f32_e32 v10, v10, v12
	v_cmp_class_f32_e64 vcc_lo, v15, 0x204
	s_delay_alu instid0(VALU_DEP_2) | instskip(NEXT) | instid1(VALU_DEP_1)
	v_fmac_f32_e32 v11, v13, v10
	v_add_f32_e32 v10, v15, v11
	s_wait_alu 0xfffd
	s_delay_alu instid0(VALU_DEP_1) | instskip(SKIP_2) | instid1(VALU_DEP_3)
	v_cndmask_b32_e32 v12, v10, v15, vcc_lo
	v_fma_f64 v[5:6], 0xc1f00000, v[8:9], v[5:6]
	v_sub_f32_e32 v10, v10, v15
	v_cmp_eq_f32_e32 vcc_lo, 0x42b17218, v12
	s_delay_alu instid0(VALU_DEP_2)
	v_sub_f32_e32 v10, v11, v10
	v_trunc_f32_e32 v11, v13
	s_wait_alu 0xfffd
	v_cndmask_b32_e64 v16, 0, 0x37000000, vcc_lo
	v_cmp_neq_f32_e64 vcc_lo, 0x7f800000, |v12|
	s_wait_alu 0xfffd
	v_cndmask_b32_e32 v10, 0, v10, vcc_lo
	v_cvt_u32_f64_e32 v5, v[5:6]
	v_cvt_i32_f64_e32 v6, v[8:9]
	s_delay_alu instid0(VALU_DEP_3) | instskip(SKIP_1) | instid1(VALU_DEP_1)
	v_add_f32_e32 v9, v16, v10
	v_sub_f32_e32 v17, v12, v16
	v_mul_f32_e32 v18, 0x3fb8aa3b, v17
	v_cmp_ngt_f32_e32 vcc_lo, 0xc2ce8ed0, v17
	s_delay_alu instid0(VALU_DEP_2) | instskip(SKIP_1) | instid1(VALU_DEP_1)
	v_fma_f32 v19, 0x3fb8aa3b, v17, -v18
	v_rndne_f32_e32 v20, v18
	v_dual_fmac_f32 v19, 0x32a5705f, v17 :: v_dual_sub_f32 v18, v18, v20
	v_cvt_i32_f32_e32 v15, v20
	s_delay_alu instid0(VALU_DEP_2) | instskip(NEXT) | instid1(VALU_DEP_1)
	v_dual_add_f32 v18, v18, v19 :: v_dual_mul_f32 v19, 0.5, v13
	v_exp_f32_e32 v18, v18
	s_delay_alu instid0(VALU_DEP_1) | instskip(NEXT) | instid1(VALU_DEP_1)
	v_trunc_f32_e32 v8, v19
	v_cmp_neq_f32_e64 s2, v8, v19
	v_mul_lo_u32 v19, s17, v5
	s_delay_alu instid0(TRANS32_DEP_1) | instskip(SKIP_3) | instid1(VALU_DEP_3)
	v_ldexp_f32 v15, v18, v15
	v_mul_lo_u32 v18, s14, v6
	v_mul_lo_u32 v20, s15, v5
	s_wait_alu 0xfffd
	v_cndmask_b32_e32 v12, 0, v15, vcc_lo
	v_cmp_nlt_f32_e32 vcc_lo, 0x42b17218, v17
	s_wait_alu 0xfffd
	s_delay_alu instid0(VALU_DEP_2) | instskip(SKIP_1) | instid1(VALU_DEP_2)
	v_cndmask_b32_e32 v10, 0x7f800000, v12, vcc_lo
	v_cmp_eq_f32_e32 vcc_lo, v11, v13
	v_fma_f32 v8, v10, v9, v10
	v_cmp_class_f32_e64 s3, v10, 0x204
	s_and_b32 s2, vcc_lo, s2
	s_wait_alu 0xfffe
	v_cndmask_b32_e64 v9, 1.0, v14, s2
	v_cndmask_b32_e64 v12, 0, v14, s2
	v_cndmask_b32_e64 v8, v8, v10, s3
	v_cmp_lt_f32_e64 s3, |v14|, 1.0
	s_delay_alu instid0(VALU_DEP_2)
	v_bfi_b32 v8, 0x7fffffff, v8, v9
	s_xor_b32 s0, s6, s3
	s_lshl_b64 s[6:7], s[16:17], 2
	s_wait_alu 0xfffe
	v_cndmask_b32_e64 v9, 0x7f800000, 0, s0
	v_cmp_gt_f32_e64 s0, 0, v13
	v_cndmask_b32_e32 v11, 0x7fc00000, v8, vcc_lo
	v_cmp_neq_f32_e64 vcc_lo, |v14|, 1.0
	s_add_f32 s3, s11, -2.0
	v_cndmask_b32_e64 v10, 0x7f800000, 0, s0
	v_cmp_neq_f32_e64 s0, 0, v0
	s_wait_alu 0xfffd
	v_cndmask_b32_e32 v9, 1.0, v9, vcc_lo
	v_cmp_gt_f32_e32 vcc_lo, 0, v14
	v_mul_lo_u32 v0, s16, v6
	v_bfi_b32 v10, 0x7fffffff, v10, v12
	s_wait_alu 0xfffd
	v_cndmask_b32_e32 v8, v8, v11, vcc_lo
	v_cmp_class_f32_e64 vcc_lo, v13, 0x204
	s_wait_alu 0xfffd
	s_delay_alu instid0(VALU_DEP_2) | instskip(SKIP_4) | instid1(VALU_DEP_3)
	v_cndmask_b32_e32 v8, v8, v9, vcc_lo
	v_add_co_u32 v16, vcc_lo, v5, 1
	s_wait_alu 0xfffd
	v_add_co_ci_u32_e64 v17, null, 0, v6, vcc_lo
	v_cmp_class_f32_e64 vcc_lo, v14, 0x204
	v_mul_lo_u32 v12, v16, v6
	s_delay_alu instid0(VALU_DEP_3)
	v_mul_lo_u32 v11, v17, v5
	s_wait_alu 0xfffd
	v_cndmask_b32_e32 v8, v8, v10, vcc_lo
	v_mad_co_u64_u32 v[9:10], null, v16, v5, 0
	v_cmp_o_f32_e32 vcc_lo, v14, v13
	s_wait_alu 0xfffd
	s_delay_alu instid0(VALU_DEP_3) | instskip(NEXT) | instid1(VALU_DEP_3)
	v_cndmask_b32_e32 v8, 0x7fc00000, v8, vcc_lo
	v_add3_u32 v15, v10, v12, v11
	v_mad_co_u64_u32 v[10:11], null, s16, v5, 0
	v_mad_co_u64_u32 v[12:13], null, s14, v5, 0
	s_delay_alu instid0(VALU_DEP_3) | instskip(SKIP_3) | instid1(VALU_DEP_3)
	v_lshrrev_b32_e32 v14, 31, v15
	v_sub_co_u32 v21, vcc_lo, s14, v5
	s_wait_alu 0xfffd
	v_sub_co_ci_u32_e64 v22, null, s15, v6, vcc_lo
	v_add_co_u32 v14, vcc_lo, v9, v14
	s_wait_alu 0xfffd
	v_add_co_ci_u32_e64 v15, null, 0, v15, vcc_lo
	v_add3_u32 v11, v11, v0, v19
	v_add3_u32 v0, v13, v18, v20
	v_add_co_u32 v21, vcc_lo, v21, -2
	s_delay_alu instid0(VALU_DEP_4)
	v_ashrrev_i64 v[13:14], 1, v[14:15]
	s_wait_alu 0xfffd
	v_add_co_ci_u32_e64 v9, null, -1, v22, vcc_lo
	v_sub_co_u32 v1, vcc_lo, v1, v12
	s_wait_alu 0xfffd
	v_sub_co_ci_u32_e64 v0, null, v2, v0, vcc_lo
	s_delay_alu instid0(VALU_DEP_3) | instskip(NEXT) | instid1(VALU_DEP_3)
	v_mul_lo_u32 v19, v9, s14
	v_add_co_u32 v2, vcc_lo, v13, v1
	s_wait_alu 0xfffd
	s_delay_alu instid0(VALU_DEP_3) | instskip(SKIP_1) | instid1(VALU_DEP_3)
	v_add_co_ci_u32_e64 v9, null, v14, v0, vcc_lo
	v_lshlrev_b64_e32 v[0:1], 2, v[10:11]
	v_add_co_u32 v10, vcc_lo, v16, v2
	s_wait_alu 0xfffd
	s_delay_alu instid0(VALU_DEP_3)
	v_add_co_ci_u32_e64 v11, null, v17, v9, vcc_lo
	v_mul_lo_u32 v14, v2, s15
	v_mul_lo_u32 v15, v9, s14
	v_mad_co_u64_u32 v[5:6], null, v2, s14, v[5:6]
	v_mul_lo_u32 v18, v21, s15
	v_mad_co_u64_u32 v[12:13], null, v21, s14, v[10:11]
	v_mul_lo_u32 v16, v11, s16
	v_mul_lo_u32 v17, v10, s17
	v_mad_co_u64_u32 v[10:11], null, v10, s16, 0
	v_add3_u32 v6, v15, v6, v14
	v_mul_lo_u32 v20, v5, s17
	v_mad_co_u64_u32 v[14:15], null, v5, s16, 0
	v_add_co_u32 v2, vcc_lo, s8, v0
	s_delay_alu instid0(VALU_DEP_4) | instskip(SKIP_4) | instid1(VALU_DEP_4)
	v_mul_lo_u32 v5, v6, s16
	v_add3_u32 v6, v19, v13, v18
	v_add3_u32 v11, v11, v17, v16
	v_mul_lo_u32 v16, s17, v12
	v_mad_co_u64_u32 v[12:13], null, s16, v12, 0
	v_mul_lo_u32 v17, s16, v6
	s_wait_alu 0xfffd
	v_add_co_ci_u32_e64 v9, null, s9, v1, vcc_lo
	v_add3_u32 v15, v15, v20, v5
	v_lshlrev_b64_e32 v[10:11], 2, v[10:11]
	v_add_co_u32 v0, vcc_lo, v2, s6
	s_wait_alu 0xfffd
	v_add_co_ci_u32_e64 v1, null, s7, v9, vcc_lo
	v_add3_u32 v13, v13, v17, v16
	v_lshlrev_b64_e32 v[14:15], 2, v[14:15]
	v_add_co_u32 v5, vcc_lo, v2, v3
	s_wait_alu 0xfffd
	v_add_co_ci_u32_e64 v6, null, v9, v4, vcc_lo
	v_lshlrev_b64_e32 v[16:17], 2, v[12:13]
	v_add_co_u32 v10, vcc_lo, s8, v10
	s_wait_alu 0xfffd
	v_add_co_ci_u32_e64 v11, null, s9, v11, vcc_lo
	v_add_co_u32 v12, vcc_lo, s4, v14
	s_wait_alu 0xfffd
	v_add_co_ci_u32_e64 v13, null, s5, v15, vcc_lo
	;; [unrolled: 3-line block ×3, first 2 shown]
	s_mov_b32 s6, 0
	s_lshl_b64 s[4:5], s[12:13], 2
	s_branch .LBB25_4
.LBB25_3:                               ;   in Loop: Header=BB25_4 Depth=1
	s_wait_alu 0xfffe
	s_or_b32 exec_lo, exec_lo, s7
	v_add_co_u32 v17, vcc_lo, v14, v3
	s_wait_alu 0xfffd
	v_add_co_ci_u32_e64 v18, null, v15, v4, vcc_lo
	v_add_co_u32 v5, vcc_lo, v5, s4
	s_wait_alu 0xfffd
	v_add_co_ci_u32_e64 v6, null, s5, v6, vcc_lo
	v_add_co_u32 v19, vcc_lo, v12, v3
	s_wait_alu 0xfffd
	v_add_co_ci_u32_e64 v20, null, v13, v4, vcc_lo
	s_delay_alu instid0(VALU_DEP_3)
	v_cmp_ge_u64_e32 vcc_lo, v[5:6], v[0:1]
	v_add_co_u32 v3, s1, v3, s4
	s_wait_alu 0xf1ff
	v_add_co_ci_u32_e64 v4, null, s5, v4, s1
	v_xor_b32_e32 v21, 0x80000000, v16
	s_or_b32 s6, vcc_lo, s6
	s_clause 0x1
	global_store_b32 v[19:20], v16, off
	global_store_b32 v[17:18], v21, off
	s_wait_alu 0xfffe
	s_and_not1_b32 exec_lo, exec_lo, s6
	s_cbranch_execz .LBB25_6
.LBB25_4:                               ; =>This Inner Loop Header: Depth=1
	v_mov_b32_e32 v16, 0
	s_and_saveexec_b32 s7, s0
	s_cbranch_execz .LBB25_3
; %bb.5:                                ;   in Loop: Header=BB25_4 Depth=1
	v_add_co_u32 v16, vcc_lo, v2, v3
	s_wait_alu 0xfffd
	v_add_co_ci_u32_e64 v17, null, v9, v4, vcc_lo
	v_add_co_u32 v18, vcc_lo, v10, v3
	s_wait_alu 0xfffd
	v_add_co_ci_u32_e64 v19, null, v11, v4, vcc_lo
	s_clause 0x1
	global_load_b32 v16, v[16:17], off
	global_load_b32 v17, v[18:19], off
	s_wait_loadcnt 0x0
	v_sub_f32_e32 v18, v16, v17
	s_delay_alu instid0(VALU_DEP_1) | instskip(SKIP_1) | instid1(VALU_DEP_1)
	v_cmp_neq_f32_e64 s1, |v18|, 1.0
	s_wait_alu 0xf1fe
	v_cndmask_b32_e64 v19, 1.0, s3, s1
	s_delay_alu instid0(VALU_DEP_1) | instskip(SKIP_3) | instid1(VALU_DEP_1)
	v_cmp_neq_f32_e32 vcc_lo, 0, v19
	v_cmp_neq_f32_e64 s2, v19, |v19|
	s_wait_alu 0xfffd
	v_cndmask_b32_e64 v20, 1.0, |v18|, vcc_lo
	v_frexp_mant_f32_e32 v16, v20
	s_delay_alu instid0(VALU_DEP_1) | instskip(SKIP_2) | instid1(VALU_DEP_1)
	v_cmp_gt_f32_e32 vcc_lo, 0x3f2aaaab, v16
	s_wait_alu 0xfffd
	v_cndmask_b32_e64 v17, 1.0, 2.0, vcc_lo
	v_mul_f32_e32 v16, v16, v17
	s_delay_alu instid0(VALU_DEP_1) | instskip(SKIP_1) | instid1(VALU_DEP_2)
	v_add_f32_e32 v17, 1.0, v16
	v_add_f32_e32 v22, -1.0, v16
	v_rcp_f32_e32 v21, v17
	v_add_f32_e32 v24, -1.0, v17
	s_delay_alu instid0(TRANS32_DEP_1) | instskip(NEXT) | instid1(VALU_DEP_1)
	v_mul_f32_e32 v23, v22, v21
	v_dual_mul_f32 v25, v17, v23 :: v_dual_sub_f32 v16, v16, v24
	s_delay_alu instid0(VALU_DEP_1) | instskip(NEXT) | instid1(VALU_DEP_1)
	v_fma_f32 v17, v23, v17, -v25
	v_fmac_f32_e32 v17, v23, v16
	s_delay_alu instid0(VALU_DEP_1) | instskip(NEXT) | instid1(VALU_DEP_1)
	v_add_f32_e32 v16, v25, v17
	v_dual_sub_f32 v25, v16, v25 :: v_dual_sub_f32 v24, v22, v16
	s_delay_alu instid0(VALU_DEP_1) | instskip(NEXT) | instid1(VALU_DEP_1)
	v_dual_sub_f32 v17, v25, v17 :: v_dual_sub_f32 v22, v22, v24
	v_sub_f32_e32 v16, v22, v16
	s_delay_alu instid0(VALU_DEP_1) | instskip(NEXT) | instid1(VALU_DEP_1)
	v_add_f32_e32 v16, v17, v16
	v_add_f32_e32 v16, v24, v16
	s_delay_alu instid0(VALU_DEP_1) | instskip(NEXT) | instid1(VALU_DEP_1)
	v_mul_f32_e32 v16, v21, v16
	v_add_f32_e32 v21, v23, v16
	s_delay_alu instid0(VALU_DEP_1) | instskip(SKIP_1) | instid1(VALU_DEP_1)
	v_sub_f32_e32 v17, v21, v23
	v_mul_f32_e32 v22, v21, v21
	v_fma_f32 v24, v21, v21, -v22
	s_delay_alu instid0(VALU_DEP_3) | instskip(NEXT) | instid1(VALU_DEP_1)
	v_sub_f32_e32 v23, v16, v17
	v_add_f32_e32 v16, v23, v23
	s_delay_alu instid0(VALU_DEP_1) | instskip(SKIP_1) | instid1(VALU_DEP_2)
	v_fmac_f32_e32 v24, v21, v16
	v_cvt_f64_f32_e32 v[16:17], v20
	v_add_f32_e32 v25, v22, v24
	s_delay_alu instid0(VALU_DEP_1) | instskip(SKIP_1) | instid1(VALU_DEP_1)
	v_fmaak_f32 v26, s10, v25, 0x3e91f4c4
	v_sub_f32_e32 v22, v25, v22
	v_dual_mul_f32 v29, v21, v25 :: v_dual_sub_f32 v22, v24, v22
	s_delay_alu instid0(VALU_DEP_3) | instskip(NEXT) | instid1(VALU_DEP_1)
	v_fmaak_f32 v26, v25, v26, 0x3ecccdef
	v_mul_f32_e32 v27, v25, v26
	s_delay_alu instid0(VALU_DEP_1) | instskip(NEXT) | instid1(VALU_DEP_1)
	v_fma_f32 v24, v25, v26, -v27
	v_fmac_f32_e32 v24, v22, v26
	s_delay_alu instid0(VALU_DEP_1) | instskip(SKIP_1) | instid1(VALU_DEP_2)
	v_add_f32_e32 v26, v27, v24
	v_frexp_exp_i32_f64_e32 v16, v[16:17]
	v_sub_f32_e32 v27, v26, v27
	s_delay_alu instid0(VALU_DEP_1) | instskip(SKIP_1) | instid1(VALU_DEP_2)
	v_sub_f32_e32 v17, v24, v27
	v_fma_f32 v27, v25, v21, -v29
	v_add_f32_e32 v17, 0x31739010, v17
	s_delay_alu instid0(VALU_DEP_2) | instskip(SKIP_1) | instid1(VALU_DEP_2)
	v_dual_add_f32 v28, 0x3f2aaaaa, v26 :: v_dual_fmac_f32 v27, v25, v23
	v_ldexp_f32 v23, v23, 1
	v_dual_add_f32 v24, 0xbf2aaaaa, v28 :: v_dual_fmac_f32 v27, v22, v21
	s_delay_alu instid0(VALU_DEP_1) | instskip(NEXT) | instid1(VALU_DEP_1)
	v_sub_f32_e32 v24, v26, v24
	v_add_f32_e32 v17, v17, v24
	s_delay_alu instid0(VALU_DEP_3) | instskip(NEXT) | instid1(VALU_DEP_2)
	v_add_f32_e32 v24, v29, v27
	v_add_f32_e32 v22, v28, v17
	v_subrev_co_ci_u32_e64 v16, null, 0, v16, vcc_lo
	s_delay_alu instid0(VALU_DEP_2) | instskip(NEXT) | instid1(VALU_DEP_4)
	v_sub_f32_e32 v25, v28, v22
	v_mul_f32_e32 v26, v24, v22
	s_delay_alu instid0(VALU_DEP_3) | instskip(SKIP_1) | instid1(VALU_DEP_4)
	v_cvt_f32_i32_e32 v16, v16
	v_sub_f32_e32 v28, v24, v29
	v_add_f32_e32 v17, v17, v25
	s_delay_alu instid0(VALU_DEP_4) | instskip(NEXT) | instid1(VALU_DEP_3)
	v_fma_f32 v25, v24, v22, -v26
	v_sub_f32_e32 v27, v27, v28
	s_delay_alu instid0(VALU_DEP_2) | instskip(SKIP_1) | instid1(VALU_DEP_2)
	v_fmac_f32_e32 v25, v24, v17
	v_ldexp_f32 v17, v21, 1
	v_fmac_f32_e32 v25, v27, v22
	s_delay_alu instid0(VALU_DEP_1) | instskip(NEXT) | instid1(VALU_DEP_1)
	v_add_f32_e32 v21, v26, v25
	v_add_f32_e32 v22, v17, v21
	s_delay_alu instid0(VALU_DEP_1) | instskip(NEXT) | instid1(VALU_DEP_1)
	v_dual_sub_f32 v17, v22, v17 :: v_dual_sub_f32 v24, v21, v26
	v_dual_mul_f32 v26, 0x3f317218, v16 :: v_dual_sub_f32 v17, v21, v17
	s_delay_alu instid0(VALU_DEP_2) | instskip(NEXT) | instid1(VALU_DEP_2)
	v_sub_f32_e32 v24, v25, v24
	v_fma_f32 v25, 0x3f317218, v16, -v26
	s_delay_alu instid0(VALU_DEP_2) | instskip(NEXT) | instid1(VALU_DEP_1)
	v_add_f32_e32 v21, v23, v24
	v_dual_fmac_f32 v25, 0xb102e308, v16 :: v_dual_add_f32 v16, v21, v17
	s_delay_alu instid0(VALU_DEP_1) | instskip(NEXT) | instid1(VALU_DEP_2)
	v_add_f32_e32 v17, v26, v25
	v_add_f32_e32 v21, v22, v16
	s_delay_alu instid0(VALU_DEP_1) | instskip(SKIP_1) | instid1(VALU_DEP_1)
	v_add_f32_e32 v23, v17, v21
	v_sub_f32_e32 v26, v17, v26
	v_dual_sub_f32 v24, v23, v17 :: v_dual_sub_f32 v25, v25, v26
	s_delay_alu instid0(VALU_DEP_1) | instskip(NEXT) | instid1(VALU_DEP_1)
	v_dual_sub_f32 v27, v23, v24 :: v_dual_sub_f32 v22, v21, v22
	v_dual_sub_f32 v21, v21, v24 :: v_dual_sub_f32 v16, v16, v22
	s_delay_alu instid0(VALU_DEP_2) | instskip(NEXT) | instid1(VALU_DEP_2)
	v_sub_f32_e32 v17, v17, v27
	v_add_f32_e32 v22, v25, v16
	s_delay_alu instid0(VALU_DEP_2) | instskip(NEXT) | instid1(VALU_DEP_2)
	v_add_f32_e32 v17, v21, v17
	v_sub_f32_e32 v21, v22, v25
	s_delay_alu instid0(VALU_DEP_2) | instskip(NEXT) | instid1(VALU_DEP_2)
	v_add_f32_e32 v17, v22, v17
	v_sub_f32_e32 v22, v22, v21
	s_delay_alu instid0(VALU_DEP_2) | instskip(NEXT) | instid1(VALU_DEP_2)
	v_add_f32_e32 v24, v23, v17
	v_dual_sub_f32 v16, v16, v21 :: v_dual_sub_f32 v21, v25, v22
	s_delay_alu instid0(VALU_DEP_2) | instskip(NEXT) | instid1(VALU_DEP_1)
	v_sub_f32_e32 v22, v24, v23
	v_dual_add_f32 v16, v16, v21 :: v_dual_sub_f32 v17, v17, v22
	s_delay_alu instid0(VALU_DEP_1) | instskip(NEXT) | instid1(VALU_DEP_1)
	v_add_f32_e32 v16, v16, v17
	v_add_f32_e32 v17, v24, v16
	s_delay_alu instid0(VALU_DEP_1) | instskip(NEXT) | instid1(VALU_DEP_1)
	v_dual_sub_f32 v21, v17, v24 :: v_dual_mul_f32 v22, v19, v17
	v_sub_f32_e32 v16, v16, v21
	s_delay_alu instid0(VALU_DEP_2) | instskip(SKIP_1) | instid1(VALU_DEP_2)
	v_fma_f32 v17, v19, v17, -v22
	v_cmp_class_f32_e64 vcc_lo, v22, 0x204
	v_fmac_f32_e32 v17, v19, v16
	s_delay_alu instid0(VALU_DEP_1) | instskip(SKIP_1) | instid1(VALU_DEP_1)
	v_add_f32_e32 v16, v22, v17
	s_wait_alu 0xfffd
	v_cndmask_b32_e32 v21, v16, v22, vcc_lo
	s_delay_alu instid0(VALU_DEP_1) | instskip(SKIP_2) | instid1(VALU_DEP_1)
	v_cmp_eq_f32_e32 vcc_lo, 0x42b17218, v21
	s_wait_alu 0xfffd
	v_cndmask_b32_e64 v23, 0, 0x37000000, vcc_lo
	v_sub_f32_e32 v24, v21, v23
	s_delay_alu instid0(VALU_DEP_1) | instskip(SKIP_1) | instid1(VALU_DEP_2)
	v_mul_f32_e32 v25, 0x3fb8aa3b, v24
	v_cmp_nlt_f32_e64 s1, 0x42b17218, v24
	v_fma_f32 v26, 0x3fb8aa3b, v24, -v25
	v_rndne_f32_e32 v27, v25
	s_delay_alu instid0(VALU_DEP_1) | instskip(SKIP_3) | instid1(VALU_DEP_4)
	v_dual_fmac_f32 v26, 0x32a5705f, v24 :: v_dual_sub_f32 v25, v25, v27
	v_sub_f32_e32 v16, v16, v22
	v_cvt_i32_f32_e32 v22, v27
	v_cmp_neq_f32_e64 vcc_lo, 0x7f800000, |v21|
	v_add_f32_e32 v25, v25, v26
	s_delay_alu instid0(VALU_DEP_4) | instskip(NEXT) | instid1(VALU_DEP_2)
	v_sub_f32_e32 v16, v17, v16
	v_exp_f32_e32 v25, v25
	s_wait_alu 0xfffd
	s_delay_alu instid0(VALU_DEP_1) | instskip(SKIP_1) | instid1(VALU_DEP_2)
	v_cndmask_b32_e32 v16, 0, v16, vcc_lo
	v_cmp_ngt_f32_e32 vcc_lo, 0xc2ce8ed0, v24
	v_add_f32_e32 v16, v23, v16
	s_delay_alu instid0(TRANS32_DEP_1) | instskip(SKIP_1) | instid1(VALU_DEP_1)
	v_ldexp_f32 v17, v25, v22
	s_wait_alu 0xfffd
	v_cndmask_b32_e32 v17, 0, v17, vcc_lo
	v_cmp_gt_f32_e32 vcc_lo, 1.0, v20
	s_wait_alu 0xf1ff
	s_delay_alu instid0(VALU_DEP_2)
	v_cndmask_b32_e64 v17, 0x7f800000, v17, s1
	s_xor_b32 s1, s2, vcc_lo
	v_cmp_neq_f32_e64 s2, 1.0, v20
	s_wait_alu 0xfffe
	v_cndmask_b32_e64 v21, 0x7f800000, 0, s1
	v_cmp_gt_f32_e32 vcc_lo, 0, v19
	v_cmp_eq_f32_e64 s1, 0, v20
	v_fma_f32 v16, v17, v16, v17
	s_wait_alu 0xf1ff
	v_cndmask_b32_e64 v21, 1.0, v21, s2
	v_cmp_class_f32_e64 s2, v17, 0x204
	s_xor_b32 s8, vcc_lo, s1
	v_cndmask_b32_e64 v16, v16, v17, s2
	s_wait_alu 0xfffe
	v_cndmask_b32_e64 v17, 0x7f800000, 0, s8
	v_cmp_class_f32_e64 s8, v19, 0x204
	v_cmp_eq_f32_e64 s2, 0x7f800000, v20
	s_wait_alu 0xf1ff
	s_delay_alu instid0(VALU_DEP_2) | instskip(SKIP_2) | instid1(VALU_DEP_1)
	v_cndmask_b32_e64 v16, |v16|, v21, s8
	s_or_b32 vcc_lo, s1, s2
	s_wait_alu 0xfffe
	v_cndmask_b32_e32 v16, v16, v17, vcc_lo
	v_cmp_o_f32_e32 vcc_lo, v20, v19
	s_wait_alu 0xfffd
	s_delay_alu instid0(VALU_DEP_2) | instskip(NEXT) | instid1(VALU_DEP_1)
	v_cndmask_b32_e32 v16, 0x7fc00000, v16, vcc_lo
	v_mul_f32_e32 v16, v18, v16
	s_delay_alu instid0(VALU_DEP_1) | instskip(NEXT) | instid1(VALU_DEP_1)
	v_mul_f32_e32 v16, v7, v16
	v_div_scale_f32 v17, null, v8, v8, v16
	s_delay_alu instid0(VALU_DEP_1) | instskip(NEXT) | instid1(TRANS32_DEP_1)
	v_rcp_f32_e32 v18, v17
	v_fma_f32 v19, -v17, v18, 1.0
	s_delay_alu instid0(VALU_DEP_1) | instskip(SKIP_1) | instid1(VALU_DEP_1)
	v_fmac_f32_e32 v18, v19, v18
	v_div_scale_f32 v19, vcc_lo, v16, v8, v16
	v_mul_f32_e32 v20, v19, v18
	s_delay_alu instid0(VALU_DEP_1) | instskip(NEXT) | instid1(VALU_DEP_1)
	v_fma_f32 v21, -v17, v20, v19
	v_fmac_f32_e32 v20, v21, v18
	s_delay_alu instid0(VALU_DEP_1) | instskip(SKIP_1) | instid1(VALU_DEP_1)
	v_fma_f32 v17, -v17, v20, v19
	s_wait_alu 0xfffd
	v_div_fmas_f32 v17, v17, v18, v20
	s_delay_alu instid0(VALU_DEP_1)
	v_div_fixup_f32 v16, v17, v8, v16
	s_branch .LBB25_3
.LBB25_6:
	s_endpgm
	.section	.rodata,"a",@progbits
	.p2align	6, 0x0
	.amdhsa_kernel _ZN2at6native12_GLOBAL__N_131pdist_backward_kernel_cuda_implIfNS1_5distsIfE1pEEEvPT_PKS6_S9_S9_llllS6_dd
		.amdhsa_group_segment_fixed_size 0
		.amdhsa_private_segment_fixed_size 0
		.amdhsa_kernarg_size 344
		.amdhsa_user_sgpr_count 2
		.amdhsa_user_sgpr_dispatch_ptr 0
		.amdhsa_user_sgpr_queue_ptr 0
		.amdhsa_user_sgpr_kernarg_segment_ptr 1
		.amdhsa_user_sgpr_dispatch_id 0
		.amdhsa_user_sgpr_private_segment_size 0
		.amdhsa_wavefront_size32 1
		.amdhsa_uses_dynamic_stack 0
		.amdhsa_enable_private_segment 0
		.amdhsa_system_sgpr_workgroup_id_x 1
		.amdhsa_system_sgpr_workgroup_id_y 1
		.amdhsa_system_sgpr_workgroup_id_z 0
		.amdhsa_system_sgpr_workgroup_info 0
		.amdhsa_system_vgpr_workitem_id 1
		.amdhsa_next_free_vgpr 30
		.amdhsa_next_free_sgpr 24
		.amdhsa_reserve_vcc 1
		.amdhsa_float_round_mode_32 0
		.amdhsa_float_round_mode_16_64 0
		.amdhsa_float_denorm_mode_32 3
		.amdhsa_float_denorm_mode_16_64 3
		.amdhsa_fp16_overflow 0
		.amdhsa_workgroup_processor_mode 1
		.amdhsa_memory_ordered 1
		.amdhsa_forward_progress 1
		.amdhsa_inst_pref_size 30
		.amdhsa_round_robin_scheduling 0
		.amdhsa_exception_fp_ieee_invalid_op 0
		.amdhsa_exception_fp_denorm_src 0
		.amdhsa_exception_fp_ieee_div_zero 0
		.amdhsa_exception_fp_ieee_overflow 0
		.amdhsa_exception_fp_ieee_underflow 0
		.amdhsa_exception_fp_ieee_inexact 0
		.amdhsa_exception_int_div_zero 0
	.end_amdhsa_kernel
	.section	.text._ZN2at6native12_GLOBAL__N_131pdist_backward_kernel_cuda_implIfNS1_5distsIfE1pEEEvPT_PKS6_S9_S9_llllS6_dd,"axG",@progbits,_ZN2at6native12_GLOBAL__N_131pdist_backward_kernel_cuda_implIfNS1_5distsIfE1pEEEvPT_PKS6_S9_S9_llllS6_dd,comdat
.Lfunc_end25:
	.size	_ZN2at6native12_GLOBAL__N_131pdist_backward_kernel_cuda_implIfNS1_5distsIfE1pEEEvPT_PKS6_S9_S9_llllS6_dd, .Lfunc_end25-_ZN2at6native12_GLOBAL__N_131pdist_backward_kernel_cuda_implIfNS1_5distsIfE1pEEEvPT_PKS6_S9_S9_llllS6_dd
                                        ; -- End function
	.set _ZN2at6native12_GLOBAL__N_131pdist_backward_kernel_cuda_implIfNS1_5distsIfE1pEEEvPT_PKS6_S9_S9_llllS6_dd.num_vgpr, 30
	.set _ZN2at6native12_GLOBAL__N_131pdist_backward_kernel_cuda_implIfNS1_5distsIfE1pEEEvPT_PKS6_S9_S9_llllS6_dd.num_agpr, 0
	.set _ZN2at6native12_GLOBAL__N_131pdist_backward_kernel_cuda_implIfNS1_5distsIfE1pEEEvPT_PKS6_S9_S9_llllS6_dd.numbered_sgpr, 24
	.set _ZN2at6native12_GLOBAL__N_131pdist_backward_kernel_cuda_implIfNS1_5distsIfE1pEEEvPT_PKS6_S9_S9_llllS6_dd.num_named_barrier, 0
	.set _ZN2at6native12_GLOBAL__N_131pdist_backward_kernel_cuda_implIfNS1_5distsIfE1pEEEvPT_PKS6_S9_S9_llllS6_dd.private_seg_size, 0
	.set _ZN2at6native12_GLOBAL__N_131pdist_backward_kernel_cuda_implIfNS1_5distsIfE1pEEEvPT_PKS6_S9_S9_llllS6_dd.uses_vcc, 1
	.set _ZN2at6native12_GLOBAL__N_131pdist_backward_kernel_cuda_implIfNS1_5distsIfE1pEEEvPT_PKS6_S9_S9_llllS6_dd.uses_flat_scratch, 0
	.set _ZN2at6native12_GLOBAL__N_131pdist_backward_kernel_cuda_implIfNS1_5distsIfE1pEEEvPT_PKS6_S9_S9_llllS6_dd.has_dyn_sized_stack, 0
	.set _ZN2at6native12_GLOBAL__N_131pdist_backward_kernel_cuda_implIfNS1_5distsIfE1pEEEvPT_PKS6_S9_S9_llllS6_dd.has_recursion, 0
	.set _ZN2at6native12_GLOBAL__N_131pdist_backward_kernel_cuda_implIfNS1_5distsIfE1pEEEvPT_PKS6_S9_S9_llllS6_dd.has_indirect_call, 0
	.section	.AMDGPU.csdata,"",@progbits
; Kernel info:
; codeLenInByte = 3760
; TotalNumSgprs: 26
; NumVgprs: 30
; ScratchSize: 0
; MemoryBound: 0
; FloatMode: 240
; IeeeMode: 1
; LDSByteSize: 0 bytes/workgroup (compile time only)
; SGPRBlocks: 0
; VGPRBlocks: 3
; NumSGPRsForWavesPerEU: 26
; NumVGPRsForWavesPerEU: 30
; Occupancy: 16
; WaveLimiterHint : 0
; COMPUTE_PGM_RSRC2:SCRATCH_EN: 0
; COMPUTE_PGM_RSRC2:USER_SGPR: 2
; COMPUTE_PGM_RSRC2:TRAP_HANDLER: 0
; COMPUTE_PGM_RSRC2:TGID_X_EN: 1
; COMPUTE_PGM_RSRC2:TGID_Y_EN: 1
; COMPUTE_PGM_RSRC2:TGID_Z_EN: 0
; COMPUTE_PGM_RSRC2:TIDIG_COMP_CNT: 1
	.section	.text._ZN2at6native12_GLOBAL__N_131pdist_backward_kernel_cuda_implIfNS1_5distsIfE3oneEEEvPT_PKS6_S9_S9_llllS6_dd,"axG",@progbits,_ZN2at6native12_GLOBAL__N_131pdist_backward_kernel_cuda_implIfNS1_5distsIfE3oneEEEvPT_PKS6_S9_S9_llllS6_dd,comdat
	.globl	_ZN2at6native12_GLOBAL__N_131pdist_backward_kernel_cuda_implIfNS1_5distsIfE3oneEEEvPT_PKS6_S9_S9_llllS6_dd ; -- Begin function _ZN2at6native12_GLOBAL__N_131pdist_backward_kernel_cuda_implIfNS1_5distsIfE3oneEEEvPT_PKS6_S9_S9_llllS6_dd
	.p2align	8
	.type	_ZN2at6native12_GLOBAL__N_131pdist_backward_kernel_cuda_implIfNS1_5distsIfE3oneEEEvPT_PKS6_S9_S9_llllS6_dd,@function
_ZN2at6native12_GLOBAL__N_131pdist_backward_kernel_cuda_implIfNS1_5distsIfE3oneEEEvPT_PKS6_S9_S9_llllS6_dd: ; @_ZN2at6native12_GLOBAL__N_131pdist_backward_kernel_cuda_implIfNS1_5distsIfE3oneEEEvPT_PKS6_S9_S9_llllS6_dd
; %bb.0:
	s_clause 0x1
	s_load_b32 s2, s[0:1], 0x64
	s_load_b256 s[4:11], s[0:1], 0x20
	v_dual_mov_b32 v2, 0 :: v_dual_and_b32 v1, 0x3ff, v0
	s_wait_kmcnt 0x0
	s_and_b32 s3, s2, 0xffff
	s_delay_alu instid0(VALU_DEP_1) | instid1(SALU_CYCLE_1)
	v_mad_co_u64_u32 v[2:3], null, s3, ttmp9, v[1:2]
	s_mov_b32 s3, exec_lo
	v_cmpx_gt_i64_e64 s[10:11], v[2:3]
	s_cbranch_execz .LBB26_4
; %bb.1:
	v_bfe_u32 v0, v0, 10, 10
	s_lshr_b32 s10, s2, 16
	s_wait_alu 0xfffe
	s_delay_alu instid0(VALU_DEP_1) | instskip(NEXT) | instid1(VALU_DEP_1)
	v_mad_co_u64_u32 v[0:1], null, ttmp7, s10, v[0:1]
	v_ashrrev_i32_e32 v1, 31, v0
	s_delay_alu instid0(VALU_DEP_1)
	v_cmp_gt_i64_e32 vcc_lo, s[8:9], v[0:1]
	s_and_b32 exec_lo, exec_lo, vcc_lo
	s_cbranch_execz .LBB26_4
; %bb.2:
	v_lshlrev_b64_e32 v[4:5], 1, v[2:3]
	s_clause 0x2
	s_load_b128 s[16:19], s[0:1], 0x48
	s_load_b128 s[12:15], s[0:1], 0x0
	s_load_b64 s[2:3], s[0:1], 0x10
	s_add_nc_u64 s[0:1], s[0:1], 0x58
	v_lshlrev_b64_e32 v[0:1], 2, v[0:1]
	v_cvt_f64_u32_e32 v[5:6], v5
	v_cvt_f64_u32_e32 v[7:8], v4
	s_delay_alu instid0(VALU_DEP_2) | instskip(NEXT) | instid1(VALU_DEP_1)
	v_ldexp_f64 v[4:5], v[5:6], 32
	v_add_f64_e32 v[4:5], v[4:5], v[7:8]
	s_wait_kmcnt 0x0
	s_delay_alu instid0(VALU_DEP_1) | instskip(NEXT) | instid1(VALU_DEP_1)
	v_add_f64_e64 v[4:5], s[18:19], -v[4:5]
	v_cmp_gt_f64_e32 vcc_lo, 0x10000000, v[4:5]
	v_cndmask_b32_e64 v6, 0, 0x100, vcc_lo
	s_delay_alu instid0(VALU_DEP_1) | instskip(NEXT) | instid1(VALU_DEP_1)
	v_ldexp_f64 v[4:5], v[4:5], v6
	v_rsq_f64_e32 v[6:7], v[4:5]
	s_delay_alu instid0(TRANS32_DEP_1) | instskip(SKIP_1) | instid1(VALU_DEP_1)
	v_mul_f64_e32 v[8:9], v[4:5], v[6:7]
	v_mul_f64_e32 v[6:7], 0.5, v[6:7]
	v_fma_f64 v[10:11], -v[6:7], v[8:9], 0.5
	s_delay_alu instid0(VALU_DEP_1) | instskip(SKIP_1) | instid1(VALU_DEP_2)
	v_fma_f64 v[8:9], v[8:9], v[10:11], v[8:9]
	v_fma_f64 v[6:7], v[6:7], v[10:11], v[6:7]
	v_fma_f64 v[10:11], -v[8:9], v[8:9], v[4:5]
	s_delay_alu instid0(VALU_DEP_1) | instskip(NEXT) | instid1(VALU_DEP_1)
	v_fma_f64 v[8:9], v[10:11], v[6:7], v[8:9]
	v_fma_f64 v[10:11], -v[8:9], v[8:9], v[4:5]
	s_delay_alu instid0(VALU_DEP_1) | instskip(SKIP_4) | instid1(VALU_DEP_4)
	v_fma_f64 v[6:7], v[10:11], v[6:7], v[8:9]
	v_cndmask_b32_e64 v8, 0, 0xffffff80, vcc_lo
	v_cmp_class_f64_e64 vcc_lo, v[4:5], 0x260
	v_mul_lo_u32 v10, v3, s4
	v_mul_lo_u32 v11, v2, s5
	v_ldexp_f64 v[6:7], v[6:7], v8
	v_mad_co_u64_u32 v[8:9], null, v2, s4, 0
	s_load_b32 s4, s[0:1], 0x4
	s_lshl_b64 s[0:1], s[8:9], 2
	v_add3_u32 v9, v9, v11, v10
	s_wait_kmcnt 0x0
	s_mul_i32 s4, s4, s10
	s_wait_alu 0xfffe
	s_ashr_i32 s5, s4, 31
	v_dual_cndmask_b32 v5, v7, v5 :: v_dual_cndmask_b32 v4, v6, v4
	v_lshlrev_b64_e32 v[6:7], 2, v[8:9]
	s_delay_alu instid0(VALU_DEP_2) | instskip(NEXT) | instid1(VALU_DEP_2)
	v_add_f64_e64 v[4:5], s[16:17], -v[4:5]
	v_add_co_u32 v6, vcc_lo, s14, v6
	s_wait_alu 0xfffd
	s_delay_alu instid0(VALU_DEP_3) | instskip(SKIP_2) | instid1(VALU_DEP_1)
	v_add_co_ci_u32_e64 v7, null, s15, v7, vcc_lo
	global_load_b32 v6, v[6:7], off
	v_trunc_f64_e32 v[4:5], v[4:5]
	v_ldexp_f64 v[7:8], v[4:5], 0xffffffe0
	s_delay_alu instid0(VALU_DEP_1) | instskip(NEXT) | instid1(VALU_DEP_1)
	v_floor_f64_e32 v[7:8], v[7:8]
	v_fma_f64 v[4:5], 0xc1f00000, v[7:8], v[4:5]
	s_delay_alu instid0(VALU_DEP_1) | instskip(SKIP_1) | instid1(VALU_DEP_2)
	v_cvt_u32_f64_e32 v4, v[4:5]
	v_cvt_i32_f64_e32 v5, v[7:8]
	v_add_co_u32 v14, vcc_lo, v4, 1
	s_wait_alu 0xfffd
	s_delay_alu instid0(VALU_DEP_2) | instskip(SKIP_1) | instid1(VALU_DEP_3)
	v_add_co_ci_u32_e64 v15, null, 0, v5, vcc_lo
	v_mul_lo_u32 v16, s8, v5
	v_mad_co_u64_u32 v[7:8], null, v14, v4, 0
	s_delay_alu instid0(VALU_DEP_3)
	v_mul_lo_u32 v9, v15, v4
	v_mul_lo_u32 v10, v14, v5
	;; [unrolled: 1-line block ×5, first 2 shown]
	v_sub_co_u32 v20, vcc_lo, s6, v4
	s_wait_alu 0xfffd
	v_sub_co_ci_u32_e64 v21, null, s7, v5, vcc_lo
	v_add3_u32 v13, v8, v10, v9
	v_mad_co_u64_u32 v[8:9], null, s8, v4, 0
	v_mad_co_u64_u32 v[10:11], null, s6, v4, 0
	s_delay_alu instid0(VALU_DEP_3) | instskip(NEXT) | instid1(VALU_DEP_3)
	v_lshrrev_b32_e32 v12, 31, v13
	v_add3_u32 v9, v9, v16, v18
	s_delay_alu instid0(VALU_DEP_2) | instskip(SKIP_4) | instid1(VALU_DEP_3)
	v_add_co_u32 v12, vcc_lo, v7, v12
	s_wait_alu 0xfffd
	v_add_co_ci_u32_e64 v13, null, 0, v13, vcc_lo
	v_add3_u32 v16, v11, v17, v19
	v_add_co_u32 v20, vcc_lo, v20, -2
	v_ashrrev_i64 v[11:12], 1, v[12:13]
	s_wait_alu 0xfffd
	v_add_co_ci_u32_e64 v7, null, -1, v21, vcc_lo
	v_sub_co_u32 v2, vcc_lo, v2, v10
	s_wait_alu 0xfffd
	v_sub_co_ci_u32_e64 v3, null, v3, v16, vcc_lo
	s_delay_alu instid0(VALU_DEP_3) | instskip(NEXT) | instid1(VALU_DEP_3)
	v_mul_lo_u32 v16, v7, s6
	v_add_co_u32 v7, vcc_lo, v11, v2
	s_wait_alu 0xfffd
	s_delay_alu instid0(VALU_DEP_3) | instskip(SKIP_1) | instid1(VALU_DEP_3)
	v_add_co_ci_u32_e64 v11, null, v12, v3, vcc_lo
	v_lshlrev_b64_e32 v[2:3], 2, v[8:9]
	v_add_co_u32 v9, vcc_lo, v14, v7
	s_wait_alu 0xfffd
	s_delay_alu instid0(VALU_DEP_3)
	v_add_co_ci_u32_e64 v10, null, v15, v11, vcc_lo
	v_mul_lo_u32 v13, v7, s7
	v_mul_lo_u32 v14, v11, s6
	v_mad_co_u64_u32 v[4:5], null, v7, s6, v[4:5]
	v_mul_lo_u32 v17, v20, s7
	v_mad_co_u64_u32 v[11:12], null, v20, s6, v[9:10]
	v_mul_lo_u32 v15, v10, s8
	v_mul_lo_u32 v18, v9, s9
	v_mad_co_u64_u32 v[9:10], null, v9, s8, 0
	v_add3_u32 v5, v14, v5, v13
	v_mul_lo_u32 v19, v4, s9
	v_mad_co_u64_u32 v[13:14], null, v4, s8, 0
	v_add_co_u32 v7, vcc_lo, s2, v2
	s_delay_alu instid0(VALU_DEP_4) | instskip(SKIP_4) | instid1(VALU_DEP_4)
	v_mul_lo_u32 v4, v5, s8
	v_add3_u32 v5, v16, v12, v17
	v_add3_u32 v10, v10, v18, v15
	v_mul_lo_u32 v15, s9, v11
	v_mad_co_u64_u32 v[11:12], null, s8, v11, 0
	v_mul_lo_u32 v16, s8, v5
	s_wait_alu 0xfffd
	v_add_co_ci_u32_e64 v8, null, s3, v3, vcc_lo
	v_add3_u32 v14, v14, v19, v4
	v_lshlrev_b64_e32 v[9:10], 2, v[9:10]
	v_add_co_u32 v2, vcc_lo, v7, s0
	s_wait_alu 0xfffd
	v_add_co_ci_u32_e64 v3, null, s1, v8, vcc_lo
	v_add3_u32 v12, v12, v16, v15
	v_lshlrev_b64_e32 v[13:14], 2, v[13:14]
	v_add_co_u32 v4, vcc_lo, v7, v0
	s_wait_alu 0xfffd
	v_add_co_ci_u32_e64 v5, null, v8, v1, vcc_lo
	v_lshlrev_b64_e32 v[15:16], 2, v[11:12]
	v_add_co_u32 v9, vcc_lo, s2, v9
	s_wait_alu 0xfffd
	v_add_co_ci_u32_e64 v10, null, s3, v10, vcc_lo
	v_add_co_u32 v11, vcc_lo, s12, v13
	s_wait_alu 0xfffd
	v_add_co_ci_u32_e64 v12, null, s13, v14, vcc_lo
	;; [unrolled: 3-line block ×3, first 2 shown]
	s_mov_b32 s1, 0
	s_wait_alu 0xfffe
	s_lshl_b64 s[2:3], s[4:5], 2
.LBB26_3:                               ; =>This Inner Loop Header: Depth=1
	v_add_co_u32 v15, vcc_lo, v7, v0
	s_wait_alu 0xfffd
	v_add_co_ci_u32_e64 v16, null, v8, v1, vcc_lo
	v_add_co_u32 v17, vcc_lo, v9, v0
	s_wait_alu 0xfffd
	v_add_co_ci_u32_e64 v18, null, v10, v1, vcc_lo
	s_clause 0x1
	global_load_b32 v15, v[15:16], off
	global_load_b32 v16, v[17:18], off
	s_wait_loadcnt 0x0
	v_sub_f32_e32 v17, v15, v16
	v_add_co_u32 v15, vcc_lo, v13, v0
	s_wait_alu 0xfffd
	v_add_co_ci_u32_e64 v16, null, v14, v1, vcc_lo
	s_delay_alu instid0(VALU_DEP_3) | instskip(SKIP_2) | instid1(VALU_DEP_2)
	v_cmp_lt_f32_e64 s0, 0, v17
	v_cmp_gt_f32_e32 vcc_lo, 0, v17
	s_wait_alu 0xf1ff
	v_cndmask_b32_e64 v18, 0, 1, s0
	s_wait_alu 0xfffd
	s_delay_alu instid0(VALU_DEP_1)
	v_subrev_co_ci_u32_e64 v17, null, 0, v18, vcc_lo
	s_wait_alu 0xfffe
	v_add_co_u32 v4, vcc_lo, v4, s2
	s_wait_alu 0xfffd
	v_add_co_ci_u32_e64 v5, null, s3, v5, vcc_lo
	v_cvt_f32_i32_e32 v19, v17
	v_add_co_u32 v17, vcc_lo, v11, v0
	s_wait_alu 0xfffd
	v_add_co_ci_u32_e64 v18, null, v12, v1, vcc_lo
	s_delay_alu instid0(VALU_DEP_3)
	v_mul_f32_e32 v19, v6, v19
	v_cmp_ge_u64_e32 vcc_lo, v[4:5], v[2:3]
	v_add_co_u32 v0, s0, v0, s2
	s_wait_alu 0xf1ff
	v_add_co_ci_u32_e64 v1, null, s3, v1, s0
	v_xor_b32_e32 v20, 0x80000000, v19
	s_or_b32 s1, vcc_lo, s1
	s_clause 0x1
	global_store_b32 v[17:18], v19, off
	global_store_b32 v[15:16], v20, off
	s_wait_alu 0xfffe
	s_and_not1_b32 exec_lo, exec_lo, s1
	s_cbranch_execnz .LBB26_3
.LBB26_4:
	s_endpgm
	.section	.rodata,"a",@progbits
	.p2align	6, 0x0
	.amdhsa_kernel _ZN2at6native12_GLOBAL__N_131pdist_backward_kernel_cuda_implIfNS1_5distsIfE3oneEEEvPT_PKS6_S9_S9_llllS6_dd
		.amdhsa_group_segment_fixed_size 0
		.amdhsa_private_segment_fixed_size 0
		.amdhsa_kernarg_size 344
		.amdhsa_user_sgpr_count 2
		.amdhsa_user_sgpr_dispatch_ptr 0
		.amdhsa_user_sgpr_queue_ptr 0
		.amdhsa_user_sgpr_kernarg_segment_ptr 1
		.amdhsa_user_sgpr_dispatch_id 0
		.amdhsa_user_sgpr_private_segment_size 0
		.amdhsa_wavefront_size32 1
		.amdhsa_uses_dynamic_stack 0
		.amdhsa_enable_private_segment 0
		.amdhsa_system_sgpr_workgroup_id_x 1
		.amdhsa_system_sgpr_workgroup_id_y 1
		.amdhsa_system_sgpr_workgroup_id_z 0
		.amdhsa_system_sgpr_workgroup_info 0
		.amdhsa_system_vgpr_workitem_id 1
		.amdhsa_next_free_vgpr 22
		.amdhsa_next_free_sgpr 20
		.amdhsa_reserve_vcc 1
		.amdhsa_float_round_mode_32 0
		.amdhsa_float_round_mode_16_64 0
		.amdhsa_float_denorm_mode_32 3
		.amdhsa_float_denorm_mode_16_64 3
		.amdhsa_fp16_overflow 0
		.amdhsa_workgroup_processor_mode 1
		.amdhsa_memory_ordered 1
		.amdhsa_forward_progress 1
		.amdhsa_inst_pref_size 11
		.amdhsa_round_robin_scheduling 0
		.amdhsa_exception_fp_ieee_invalid_op 0
		.amdhsa_exception_fp_denorm_src 0
		.amdhsa_exception_fp_ieee_div_zero 0
		.amdhsa_exception_fp_ieee_overflow 0
		.amdhsa_exception_fp_ieee_underflow 0
		.amdhsa_exception_fp_ieee_inexact 0
		.amdhsa_exception_int_div_zero 0
	.end_amdhsa_kernel
	.section	.text._ZN2at6native12_GLOBAL__N_131pdist_backward_kernel_cuda_implIfNS1_5distsIfE3oneEEEvPT_PKS6_S9_S9_llllS6_dd,"axG",@progbits,_ZN2at6native12_GLOBAL__N_131pdist_backward_kernel_cuda_implIfNS1_5distsIfE3oneEEEvPT_PKS6_S9_S9_llllS6_dd,comdat
.Lfunc_end26:
	.size	_ZN2at6native12_GLOBAL__N_131pdist_backward_kernel_cuda_implIfNS1_5distsIfE3oneEEEvPT_PKS6_S9_S9_llllS6_dd, .Lfunc_end26-_ZN2at6native12_GLOBAL__N_131pdist_backward_kernel_cuda_implIfNS1_5distsIfE3oneEEEvPT_PKS6_S9_S9_llllS6_dd
                                        ; -- End function
	.set _ZN2at6native12_GLOBAL__N_131pdist_backward_kernel_cuda_implIfNS1_5distsIfE3oneEEEvPT_PKS6_S9_S9_llllS6_dd.num_vgpr, 22
	.set _ZN2at6native12_GLOBAL__N_131pdist_backward_kernel_cuda_implIfNS1_5distsIfE3oneEEEvPT_PKS6_S9_S9_llllS6_dd.num_agpr, 0
	.set _ZN2at6native12_GLOBAL__N_131pdist_backward_kernel_cuda_implIfNS1_5distsIfE3oneEEEvPT_PKS6_S9_S9_llllS6_dd.numbered_sgpr, 20
	.set _ZN2at6native12_GLOBAL__N_131pdist_backward_kernel_cuda_implIfNS1_5distsIfE3oneEEEvPT_PKS6_S9_S9_llllS6_dd.num_named_barrier, 0
	.set _ZN2at6native12_GLOBAL__N_131pdist_backward_kernel_cuda_implIfNS1_5distsIfE3oneEEEvPT_PKS6_S9_S9_llllS6_dd.private_seg_size, 0
	.set _ZN2at6native12_GLOBAL__N_131pdist_backward_kernel_cuda_implIfNS1_5distsIfE3oneEEEvPT_PKS6_S9_S9_llllS6_dd.uses_vcc, 1
	.set _ZN2at6native12_GLOBAL__N_131pdist_backward_kernel_cuda_implIfNS1_5distsIfE3oneEEEvPT_PKS6_S9_S9_llllS6_dd.uses_flat_scratch, 0
	.set _ZN2at6native12_GLOBAL__N_131pdist_backward_kernel_cuda_implIfNS1_5distsIfE3oneEEEvPT_PKS6_S9_S9_llllS6_dd.has_dyn_sized_stack, 0
	.set _ZN2at6native12_GLOBAL__N_131pdist_backward_kernel_cuda_implIfNS1_5distsIfE3oneEEEvPT_PKS6_S9_S9_llllS6_dd.has_recursion, 0
	.set _ZN2at6native12_GLOBAL__N_131pdist_backward_kernel_cuda_implIfNS1_5distsIfE3oneEEEvPT_PKS6_S9_S9_llllS6_dd.has_indirect_call, 0
	.section	.AMDGPU.csdata,"",@progbits
; Kernel info:
; codeLenInByte = 1384
; TotalNumSgprs: 22
; NumVgprs: 22
; ScratchSize: 0
; MemoryBound: 0
; FloatMode: 240
; IeeeMode: 1
; LDSByteSize: 0 bytes/workgroup (compile time only)
; SGPRBlocks: 0
; VGPRBlocks: 2
; NumSGPRsForWavesPerEU: 22
; NumVGPRsForWavesPerEU: 22
; Occupancy: 16
; WaveLimiterHint : 1
; COMPUTE_PGM_RSRC2:SCRATCH_EN: 0
; COMPUTE_PGM_RSRC2:USER_SGPR: 2
; COMPUTE_PGM_RSRC2:TRAP_HANDLER: 0
; COMPUTE_PGM_RSRC2:TGID_X_EN: 1
; COMPUTE_PGM_RSRC2:TGID_Y_EN: 1
; COMPUTE_PGM_RSRC2:TGID_Z_EN: 0
; COMPUTE_PGM_RSRC2:TIDIG_COMP_CNT: 1
	.section	.text._ZN2at6native12_GLOBAL__N_131pdist_backward_kernel_cuda_implIfNS1_5distsIfE6lt_twoEEEvPT_PKS6_S9_S9_llllS6_dd,"axG",@progbits,_ZN2at6native12_GLOBAL__N_131pdist_backward_kernel_cuda_implIfNS1_5distsIfE6lt_twoEEEvPT_PKS6_S9_S9_llllS6_dd,comdat
	.globl	_ZN2at6native12_GLOBAL__N_131pdist_backward_kernel_cuda_implIfNS1_5distsIfE6lt_twoEEEvPT_PKS6_S9_S9_llllS6_dd ; -- Begin function _ZN2at6native12_GLOBAL__N_131pdist_backward_kernel_cuda_implIfNS1_5distsIfE6lt_twoEEEvPT_PKS6_S9_S9_llllS6_dd
	.p2align	8
	.type	_ZN2at6native12_GLOBAL__N_131pdist_backward_kernel_cuda_implIfNS1_5distsIfE6lt_twoEEEvPT_PKS6_S9_S9_llllS6_dd,@function
_ZN2at6native12_GLOBAL__N_131pdist_backward_kernel_cuda_implIfNS1_5distsIfE6lt_twoEEEvPT_PKS6_S9_S9_llllS6_dd: ; @_ZN2at6native12_GLOBAL__N_131pdist_backward_kernel_cuda_implIfNS1_5distsIfE6lt_twoEEEvPT_PKS6_S9_S9_llllS6_dd
; %bb.0:
	s_clause 0x1
	s_load_b32 s2, s[0:1], 0x64
	s_load_b512 s[4:19], s[0:1], 0x0
	v_dual_mov_b32 v2, 0 :: v_dual_and_b32 v1, 0x3ff, v0
	s_wait_kmcnt 0x0
	s_and_b32 s3, s2, 0xffff
	s_delay_alu instid0(VALU_DEP_1) | instid1(SALU_CYCLE_1)
	v_mad_co_u64_u32 v[1:2], null, s3, ttmp9, v[1:2]
	s_mov_b32 s3, exec_lo
	v_cmpx_gt_i64_e64 s[18:19], v[1:2]
	s_cbranch_execz .LBB27_6
; %bb.1:
	v_bfe_u32 v0, v0, 10, 10
	s_lshr_b32 s18, s2, 16
	s_wait_alu 0xfffe
	s_delay_alu instid0(VALU_DEP_1) | instskip(NEXT) | instid1(VALU_DEP_1)
	v_mad_co_u64_u32 v[3:4], null, ttmp7, s18, v[0:1]
	v_ashrrev_i32_e32 v4, 31, v3
	s_delay_alu instid0(VALU_DEP_1)
	v_cmp_gt_i64_e32 vcc_lo, s[16:17], v[3:4]
	s_and_b32 exec_lo, exec_lo, vcc_lo
	s_cbranch_execz .LBB27_6
; %bb.2:
	v_lshlrev_b64_e32 v[5:6], 1, v[1:2]
	v_lshlrev_b64_e32 v[8:9], 2, v[1:2]
	s_clause 0x1
	s_load_b128 s[20:23], s[0:1], 0x48
	s_load_b32 s3, s[0:1], 0x40
	v_mul_lo_u32 v22, v2, s12
	v_mul_lo_u32 v23, v1, s13
	v_cvt_f64_u32_e32 v[6:7], v6
	v_cvt_f64_u32_e32 v[10:11], v5
	s_add_nc_u64 s[0:1], s[0:1], 0x58
	v_lshlrev_b64_e32 v[3:4], 2, v[3:4]
	s_load_b32 s1, s[0:1], 0x4
	s_wait_kmcnt 0x0
	s_mul_i32 s18, s1, s18
	s_delay_alu instid0(VALU_DEP_3) | instskip(SKIP_1) | instid1(VALU_DEP_1)
	v_ldexp_f64 v[5:6], v[6:7], 32
	v_add_co_u32 v7, vcc_lo, s10, v8
	v_add_co_ci_u32_e64 v8, null, s11, v9, vcc_lo
	s_add_f32 s10, s3, -1.0
	s_mov_b32 s11, 0x3e76c4e1
	global_load_b32 v0, v[7:8], off
	v_add_f64_e32 v[5:6], v[5:6], v[10:11]
	s_delay_alu instid0(VALU_DEP_1) | instskip(NEXT) | instid1(VALU_DEP_1)
	v_add_f64_e64 v[5:6], s[22:23], -v[5:6]
	v_cmp_gt_f64_e32 vcc_lo, 0x10000000, v[5:6]
	s_wait_alu 0xfffd
	v_cndmask_b32_e64 v7, 0, 0x100, vcc_lo
	s_delay_alu instid0(VALU_DEP_1) | instskip(NEXT) | instid1(VALU_DEP_1)
	v_ldexp_f64 v[5:6], v[5:6], v7
	v_rsq_f64_e32 v[7:8], v[5:6]
	s_delay_alu instid0(TRANS32_DEP_1) | instskip(SKIP_1) | instid1(VALU_DEP_1)
	v_mul_f64_e32 v[9:10], v[5:6], v[7:8]
	v_mul_f64_e32 v[7:8], 0.5, v[7:8]
	v_fma_f64 v[11:12], -v[7:8], v[9:10], 0.5
	s_delay_alu instid0(VALU_DEP_1) | instskip(SKIP_4) | instid1(VALU_DEP_1)
	v_fma_f64 v[9:10], v[9:10], v[11:12], v[9:10]
	v_fma_f64 v[7:8], v[7:8], v[11:12], v[7:8]
	s_wait_loadcnt 0x0
	v_cmp_neq_f32_e64 s2, 1.0, v0
	s_wait_alu 0xf1fe
	v_cndmask_b32_e64 v13, 1.0, s10, s2
	s_delay_alu instid0(VALU_DEP_1) | instskip(SKIP_2) | instid1(VALU_DEP_2)
	v_cmp_neq_f32_e64 s2, 0, v13
	v_cmp_neq_f32_e64 s13, v13, |v13|
	s_wait_alu 0xf1ff
	v_cndmask_b32_e64 v14, 1.0, v0, s2
	s_delay_alu instid0(VALU_DEP_1) | instskip(SKIP_1) | instid1(VALU_DEP_2)
	v_frexp_mant_f32_e64 v15, |v14|
	v_fma_f64 v[11:12], -v[9:10], v[9:10], v[5:6]
	v_cmp_gt_f32_e64 s2, 0x3f2aaaab, v15
	s_wait_alu 0xf1ff
	s_delay_alu instid0(VALU_DEP_1) | instskip(NEXT) | instid1(VALU_DEP_3)
	v_cndmask_b32_e64 v16, 1.0, 2.0, s2
	v_fma_f64 v[9:10], v[11:12], v[7:8], v[9:10]
	s_delay_alu instid0(VALU_DEP_2) | instskip(NEXT) | instid1(VALU_DEP_1)
	v_mul_f32_e32 v11, v15, v16
	v_add_f32_e32 v12, 1.0, v11
	v_add_f32_e32 v16, -1.0, v11
	s_delay_alu instid0(VALU_DEP_2) | instskip(NEXT) | instid1(VALU_DEP_1)
	v_add_f32_e32 v18, -1.0, v12
	v_sub_f32_e32 v11, v11, v18
	v_rcp_f32_e32 v15, v12
	s_delay_alu instid0(TRANS32_DEP_1) | instskip(NEXT) | instid1(VALU_DEP_1)
	v_mul_f32_e32 v17, v16, v15
	v_mul_f32_e32 v19, v12, v17
	s_delay_alu instid0(VALU_DEP_1) | instskip(NEXT) | instid1(VALU_DEP_1)
	v_fma_f32 v18, v17, v12, -v19
	v_fmac_f32_e32 v18, v17, v11
	v_fma_f64 v[11:12], -v[9:10], v[9:10], v[5:6]
	s_delay_alu instid0(VALU_DEP_2) | instskip(NEXT) | instid1(VALU_DEP_1)
	v_add_f32_e32 v20, v19, v18
	v_sub_f32_e32 v21, v16, v20
	v_sub_f32_e32 v19, v20, v19
	s_delay_alu instid0(VALU_DEP_2) | instskip(NEXT) | instid1(VALU_DEP_2)
	v_sub_f32_e32 v16, v16, v21
	v_sub_f32_e32 v18, v19, v18
	v_cndmask_b32_e64 v19, 0, 0xffffff80, vcc_lo
	v_cmp_class_f64_e64 vcc_lo, v[5:6], 0x260
	s_delay_alu instid0(VALU_DEP_4) | instskip(NEXT) | instid1(VALU_DEP_1)
	v_sub_f32_e32 v16, v16, v20
	v_add_f32_e32 v16, v18, v16
	s_delay_alu instid0(VALU_DEP_1) | instskip(NEXT) | instid1(VALU_DEP_1)
	v_add_f32_e32 v16, v21, v16
	v_mul_f32_e32 v15, v15, v16
	v_fma_f64 v[7:8], v[11:12], v[7:8], v[9:10]
	s_delay_alu instid0(VALU_DEP_2) | instskip(NEXT) | instid1(VALU_DEP_1)
	v_add_f32_e32 v16, v17, v15
	v_sub_f32_e32 v9, v16, v17
	v_mul_f32_e32 v11, v16, v16
	s_delay_alu instid0(VALU_DEP_2) | instskip(NEXT) | instid1(VALU_DEP_2)
	v_sub_f32_e32 v15, v15, v9
	v_fma_f32 v12, v16, v16, -v11
	s_delay_alu instid0(VALU_DEP_2) | instskip(NEXT) | instid1(VALU_DEP_1)
	v_add_f32_e32 v9, v15, v15
	v_fmac_f32_e32 v12, v16, v9
	v_cvt_f64_f32_e64 v[9:10], |v14|
	s_delay_alu instid0(VALU_DEP_2) | instskip(NEXT) | instid1(VALU_DEP_1)
	v_add_f32_e32 v17, v11, v12
	v_dual_fmaak_f32 v18, s11, v17, 0x3e91f4c4 :: v_dual_sub_f32 v11, v17, v11
	s_delay_alu instid0(VALU_DEP_1) | instskip(NEXT) | instid1(VALU_DEP_2)
	v_dual_mul_f32 v21, v16, v17 :: v_dual_fmaak_f32 v18, v17, v18, 0x3ecccdef
	v_sub_f32_e32 v20, v12, v11
	v_ldexp_f64 v[7:8], v[7:8], v19
	s_delay_alu instid0(VALU_DEP_3) | instskip(NEXT) | instid1(VALU_DEP_4)
	v_fma_f32 v24, v17, v16, -v21
	v_mul_f32_e32 v19, v17, v18
	s_delay_alu instid0(VALU_DEP_1) | instskip(NEXT) | instid1(VALU_DEP_1)
	v_fma_f32 v11, v17, v18, -v19
	v_fmac_f32_e32 v11, v20, v18
	s_delay_alu instid0(VALU_DEP_1) | instskip(SKIP_1) | instid1(VALU_DEP_2)
	v_add_f32_e32 v18, v19, v11
	v_frexp_exp_i32_f64_e32 v9, v[9:10]
	v_dual_sub_f32 v12, v18, v19 :: v_dual_add_f32 v19, 0x3f2aaaaa, v18
	s_delay_alu instid0(VALU_DEP_1) | instskip(SKIP_2) | instid1(VALU_DEP_3)
	v_dual_sub_f32 v25, v11, v12 :: v_dual_add_f32 v26, 0xbf2aaaaa, v19
	v_mad_co_u64_u32 v[11:12], null, v1, s12, 0
	v_fmac_f32_e32 v24, v17, v15
	v_dual_add_f32 v10, 0x31739010, v25 :: v_dual_sub_f32 v17, v18, v26
	v_ldexp_f32 v15, v15, 1
	s_wait_alu 0xfffd
	v_dual_cndmask_b32 v6, v8, v6 :: v_dual_cndmask_b32 v5, v7, v5
	s_delay_alu instid0(VALU_DEP_3) | instskip(SKIP_2) | instid1(VALU_DEP_4)
	v_add_f32_e32 v10, v10, v17
	v_fmac_f32_e32 v24, v20, v16
	v_add3_u32 v12, v12, v23, v22
	v_add_f64_e64 v[5:6], s[20:21], -v[5:6]
	s_delay_alu instid0(VALU_DEP_3) | instskip(NEXT) | instid1(VALU_DEP_3)
	v_dual_add_f32 v17, v19, v10 :: v_dual_add_f32 v18, v21, v24
	v_lshlrev_b64_e32 v[7:8], 2, v[11:12]
	s_delay_alu instid0(VALU_DEP_2) | instskip(NEXT) | instid1(VALU_DEP_3)
	v_sub_f32_e32 v11, v19, v17
	v_mul_f32_e32 v12, v18, v17
	v_sub_f32_e32 v19, v18, v21
	s_delay_alu instid0(VALU_DEP_4)
	v_add_co_u32 v7, vcc_lo, s6, v7
	s_wait_alu 0xfffd
	v_add_co_ci_u32_e64 v8, null, s7, v8, vcc_lo
	v_add_f32_e32 v10, v10, v11
	v_fma_f32 v11, v18, v17, -v12
	s_lshl_b64 s[6:7], s[16:17], 2
	global_load_b32 v7, v[7:8], off
	v_sub_f32_e32 v8, v24, v19
	s_cmp_lt_f32 s3, 1.0
	v_fmac_f32_e32 v11, v18, v10
	v_ldexp_f32 v10, v16, 1
	s_cselect_b32 s12, -1, 0
	s_ashr_i32 s19, s18, 31
	s_delay_alu instid0(VALU_DEP_2) | instskip(SKIP_1) | instid1(VALU_DEP_1)
	v_fmac_f32_e32 v11, v8, v17
	v_subrev_co_ci_u32_e64 v8, null, 0, v9, s2
	v_cvt_f32_i32_e32 v8, v8
	s_delay_alu instid0(VALU_DEP_1) | instskip(NEXT) | instid1(VALU_DEP_4)
	v_mul_f32_e32 v17, 0x3f317218, v8
	v_add_f32_e32 v9, v12, v11
	v_trunc_f64_e32 v[5:6], v[5:6]
	s_delay_alu instid0(VALU_DEP_2) | instskip(NEXT) | instid1(VALU_DEP_1)
	v_sub_f32_e32 v12, v9, v12
	v_dual_add_f32 v16, v10, v9 :: v_dual_sub_f32 v11, v11, v12
	s_delay_alu instid0(VALU_DEP_1) | instskip(SKIP_1) | instid1(VALU_DEP_2)
	v_sub_f32_e32 v10, v16, v10
	v_fma_f32 v12, 0x3f317218, v8, -v17
	v_dual_sub_f32 v9, v9, v10 :: v_dual_add_f32 v10, v15, v11
	s_delay_alu instid0(VALU_DEP_2) | instskip(NEXT) | instid1(VALU_DEP_2)
	v_fmac_f32_e32 v12, 0xb102e308, v8
	v_add_f32_e32 v8, v10, v9
	s_delay_alu instid0(VALU_DEP_1) | instskip(NEXT) | instid1(VALU_DEP_3)
	v_add_f32_e32 v11, v16, v8
	v_add_f32_e32 v10, v17, v12
	s_delay_alu instid0(VALU_DEP_1) | instskip(NEXT) | instid1(VALU_DEP_1)
	v_dual_sub_f32 v16, v11, v16 :: v_dual_add_f32 v15, v10, v11
	v_sub_f32_e32 v18, v15, v10
	s_delay_alu instid0(VALU_DEP_1) | instskip(SKIP_1) | instid1(VALU_DEP_4)
	v_sub_f32_e32 v11, v11, v18
	v_sub_f32_e32 v9, v10, v17
	v_dual_sub_f32 v17, v15, v18 :: v_dual_sub_f32 v16, v8, v16
	s_delay_alu instid0(VALU_DEP_2) | instskip(SKIP_1) | instid1(VALU_DEP_2)
	v_sub_f32_e32 v12, v12, v9
	v_ldexp_f64 v[8:9], v[5:6], 0xffffffe0
	v_dual_sub_f32 v10, v10, v17 :: v_dual_add_f32 v17, v12, v16
	s_delay_alu instid0(VALU_DEP_1) | instskip(NEXT) | instid1(VALU_DEP_1)
	v_add_f32_e32 v10, v11, v10
	v_add_f32_e32 v10, v17, v10
	s_delay_alu instid0(VALU_DEP_1) | instskip(NEXT) | instid1(VALU_DEP_1)
	v_add_f32_e32 v18, v15, v10
	v_sub_f32_e32 v15, v18, v15
	v_sub_f32_e32 v11, v17, v12
	s_delay_alu instid0(VALU_DEP_1) | instskip(SKIP_1) | instid1(VALU_DEP_2)
	v_sub_f32_e32 v17, v17, v11
	v_sub_f32_e32 v11, v16, v11
	;; [unrolled: 1-line block ×3, first 2 shown]
	s_delay_alu instid0(VALU_DEP_1) | instskip(SKIP_2) | instid1(VALU_DEP_1)
	v_add_f32_e32 v11, v11, v12
	v_floor_f64_e32 v[8:9], v[8:9]
	v_sub_f32_e32 v10, v10, v15
	v_add_f32_e32 v10, v11, v10
	s_delay_alu instid0(VALU_DEP_1) | instskip(NEXT) | instid1(VALU_DEP_1)
	v_add_f32_e32 v11, v18, v10
	v_dual_mul_f32 v15, v13, v11 :: v_dual_sub_f32 v12, v11, v18
	s_delay_alu instid0(VALU_DEP_1) | instskip(NEXT) | instid1(VALU_DEP_2)
	v_fma_f32 v11, v13, v11, -v15
	v_sub_f32_e32 v10, v10, v12
	v_cmp_class_f32_e64 vcc_lo, v15, 0x204
	s_delay_alu instid0(VALU_DEP_2) | instskip(NEXT) | instid1(VALU_DEP_1)
	v_fmac_f32_e32 v11, v13, v10
	v_add_f32_e32 v10, v15, v11
	s_wait_alu 0xfffd
	s_delay_alu instid0(VALU_DEP_1) | instskip(SKIP_2) | instid1(VALU_DEP_3)
	v_cndmask_b32_e32 v12, v10, v15, vcc_lo
	v_fma_f64 v[5:6], 0xc1f00000, v[8:9], v[5:6]
	v_sub_f32_e32 v10, v10, v15
	v_cmp_eq_f32_e32 vcc_lo, 0x42b17218, v12
	s_delay_alu instid0(VALU_DEP_2)
	v_sub_f32_e32 v10, v11, v10
	v_trunc_f32_e32 v11, v13
	s_wait_alu 0xfffd
	v_cndmask_b32_e64 v16, 0, 0x37000000, vcc_lo
	v_cmp_neq_f32_e64 vcc_lo, 0x7f800000, |v12|
	s_wait_alu 0xfffd
	v_cndmask_b32_e32 v10, 0, v10, vcc_lo
	v_cvt_u32_f64_e32 v5, v[5:6]
	v_cvt_i32_f64_e32 v6, v[8:9]
	s_delay_alu instid0(VALU_DEP_3) | instskip(SKIP_1) | instid1(VALU_DEP_1)
	v_add_f32_e32 v9, v16, v10
	v_sub_f32_e32 v17, v12, v16
	v_mul_f32_e32 v18, 0x3fb8aa3b, v17
	v_cmp_ngt_f32_e32 vcc_lo, 0xc2ce8ed0, v17
	s_delay_alu instid0(VALU_DEP_2) | instskip(SKIP_1) | instid1(VALU_DEP_1)
	v_fma_f32 v19, 0x3fb8aa3b, v17, -v18
	v_rndne_f32_e32 v20, v18
	v_dual_fmac_f32 v19, 0x32a5705f, v17 :: v_dual_sub_f32 v18, v18, v20
	v_cvt_i32_f32_e32 v15, v20
	s_delay_alu instid0(VALU_DEP_2) | instskip(NEXT) | instid1(VALU_DEP_1)
	v_dual_add_f32 v18, v18, v19 :: v_dual_mul_f32 v19, 0.5, v13
	v_exp_f32_e32 v18, v18
	s_delay_alu instid0(VALU_DEP_1) | instskip(NEXT) | instid1(VALU_DEP_1)
	v_trunc_f32_e32 v8, v19
	v_cmp_neq_f32_e64 s2, v8, v19
	v_mul_lo_u32 v19, s17, v5
	s_delay_alu instid0(TRANS32_DEP_1) | instskip(SKIP_3) | instid1(VALU_DEP_3)
	v_ldexp_f32 v15, v18, v15
	v_mul_lo_u32 v18, s14, v6
	v_mul_lo_u32 v20, s15, v5
	s_wait_alu 0xfffd
	v_cndmask_b32_e32 v12, 0, v15, vcc_lo
	v_cmp_nlt_f32_e32 vcc_lo, 0x42b17218, v17
	s_wait_alu 0xfffd
	s_delay_alu instid0(VALU_DEP_2) | instskip(SKIP_1) | instid1(VALU_DEP_2)
	v_cndmask_b32_e32 v10, 0x7f800000, v12, vcc_lo
	v_cmp_eq_f32_e32 vcc_lo, v11, v13
	v_fma_f32 v8, v10, v9, v10
	v_cmp_class_f32_e64 s3, v10, 0x204
	s_and_b32 s2, vcc_lo, s2
	s_wait_alu 0xfffe
	v_cndmask_b32_e64 v9, 1.0, v14, s2
	v_cndmask_b32_e64 v12, 0, v14, s2
	v_cndmask_b32_e64 v8, v8, v10, s3
	v_cmp_lt_f32_e64 s3, |v14|, 1.0
	s_delay_alu instid0(VALU_DEP_2)
	v_bfi_b32 v8, 0x7fffffff, v8, v9
	s_xor_b32 s0, s13, s3
	s_mov_b32 s3, 0
	s_wait_alu 0xfffe
	v_cndmask_b32_e64 v9, 0x7f800000, 0, s0
	v_cmp_gt_f32_e64 s0, 0, v13
	v_cndmask_b32_e32 v11, 0x7fc00000, v8, vcc_lo
	v_cmp_neq_f32_e64 vcc_lo, |v14|, 1.0
	s_wait_alu 0xf1ff
	s_delay_alu instid0(VALU_DEP_3)
	v_cndmask_b32_e64 v10, 0x7f800000, 0, s0
	v_cmp_eq_f32_e64 s0, 0, v0
	s_wait_alu 0xfffd
	v_cndmask_b32_e32 v9, 1.0, v9, vcc_lo
	v_cmp_gt_f32_e32 vcc_lo, 0, v14
	v_mul_lo_u32 v0, s16, v6
	v_bfi_b32 v10, 0x7fffffff, v10, v12
	s_wait_alu 0xfffd
	v_cndmask_b32_e32 v8, v8, v11, vcc_lo
	v_cmp_class_f32_e64 vcc_lo, v13, 0x204
	s_wait_alu 0xfffd
	s_delay_alu instid0(VALU_DEP_2) | instskip(SKIP_4) | instid1(VALU_DEP_3)
	v_cndmask_b32_e32 v8, v8, v9, vcc_lo
	v_add_co_u32 v16, vcc_lo, v5, 1
	s_wait_alu 0xfffd
	v_add_co_ci_u32_e64 v17, null, 0, v6, vcc_lo
	v_cmp_class_f32_e64 vcc_lo, v14, 0x204
	v_mul_lo_u32 v12, v16, v6
	s_delay_alu instid0(VALU_DEP_3)
	v_mul_lo_u32 v11, v17, v5
	s_wait_alu 0xfffd
	v_cndmask_b32_e32 v8, v8, v10, vcc_lo
	v_mad_co_u64_u32 v[9:10], null, v16, v5, 0
	v_cmp_o_f32_e32 vcc_lo, v14, v13
	s_wait_alu 0xfffd
	s_delay_alu instid0(VALU_DEP_3) | instskip(NEXT) | instid1(VALU_DEP_3)
	v_cndmask_b32_e32 v8, 0x7fc00000, v8, vcc_lo
	v_add3_u32 v15, v10, v12, v11
	v_mad_co_u64_u32 v[10:11], null, s16, v5, 0
	v_mad_co_u64_u32 v[12:13], null, s14, v5, 0
	s_delay_alu instid0(VALU_DEP_3) | instskip(SKIP_3) | instid1(VALU_DEP_3)
	v_lshrrev_b32_e32 v14, 31, v15
	v_sub_co_u32 v21, vcc_lo, s14, v5
	s_wait_alu 0xfffd
	v_sub_co_ci_u32_e64 v22, null, s15, v6, vcc_lo
	v_add_co_u32 v14, vcc_lo, v9, v14
	s_wait_alu 0xfffd
	v_add_co_ci_u32_e64 v15, null, 0, v15, vcc_lo
	v_add3_u32 v11, v11, v0, v19
	v_add3_u32 v0, v13, v18, v20
	v_add_co_u32 v21, vcc_lo, v21, -2
	s_delay_alu instid0(VALU_DEP_4)
	v_ashrrev_i64 v[13:14], 1, v[14:15]
	s_wait_alu 0xfffd
	v_add_co_ci_u32_e64 v9, null, -1, v22, vcc_lo
	v_sub_co_u32 v1, vcc_lo, v1, v12
	s_wait_alu 0xfffd
	v_sub_co_ci_u32_e64 v0, null, v2, v0, vcc_lo
	s_delay_alu instid0(VALU_DEP_3) | instskip(NEXT) | instid1(VALU_DEP_3)
	v_mul_lo_u32 v19, v9, s14
	v_add_co_u32 v2, vcc_lo, v13, v1
	s_wait_alu 0xfffd
	s_delay_alu instid0(VALU_DEP_3) | instskip(SKIP_1) | instid1(VALU_DEP_3)
	v_add_co_ci_u32_e64 v9, null, v14, v0, vcc_lo
	v_lshlrev_b64_e32 v[0:1], 2, v[10:11]
	v_add_co_u32 v10, vcc_lo, v16, v2
	s_wait_alu 0xfffd
	s_delay_alu instid0(VALU_DEP_3)
	v_add_co_ci_u32_e64 v11, null, v17, v9, vcc_lo
	v_mul_lo_u32 v14, v2, s15
	v_mul_lo_u32 v15, v9, s14
	v_mad_co_u64_u32 v[5:6], null, v2, s14, v[5:6]
	v_mul_lo_u32 v18, v21, s15
	v_mad_co_u64_u32 v[12:13], null, v21, s14, v[10:11]
	v_mul_lo_u32 v16, v11, s16
	v_mul_lo_u32 v17, v10, s17
	v_mad_co_u64_u32 v[10:11], null, v10, s16, 0
	v_add3_u32 v6, v15, v6, v14
	v_mul_lo_u32 v20, v5, s17
	v_mad_co_u64_u32 v[14:15], null, v5, s16, 0
	v_add_co_u32 v2, vcc_lo, s8, v0
	s_delay_alu instid0(VALU_DEP_4) | instskip(SKIP_4) | instid1(VALU_DEP_4)
	v_mul_lo_u32 v5, v6, s16
	v_add3_u32 v6, v19, v13, v18
	v_add3_u32 v11, v11, v17, v16
	v_mul_lo_u32 v16, s17, v12
	v_mad_co_u64_u32 v[12:13], null, s16, v12, 0
	v_mul_lo_u32 v17, s16, v6
	s_wait_alu 0xfffd
	v_add_co_ci_u32_e64 v9, null, s9, v1, vcc_lo
	v_add3_u32 v15, v15, v20, v5
	v_lshlrev_b64_e32 v[10:11], 2, v[10:11]
	v_add_co_u32 v0, vcc_lo, v2, s6
	s_wait_alu 0xfffd
	v_add_co_ci_u32_e64 v1, null, s7, v9, vcc_lo
	v_add3_u32 v13, v13, v17, v16
	v_lshlrev_b64_e32 v[14:15], 2, v[14:15]
	v_add_co_u32 v5, vcc_lo, v2, v3
	s_wait_alu 0xfffd
	v_add_co_ci_u32_e64 v6, null, v9, v4, vcc_lo
	v_lshlrev_b64_e32 v[16:17], 2, v[12:13]
	v_add_co_u32 v10, vcc_lo, s8, v10
	s_wait_alu 0xfffd
	v_add_co_ci_u32_e64 v11, null, s9, v11, vcc_lo
	v_add_co_u32 v12, vcc_lo, s4, v14
	s_wait_alu 0xfffd
	v_add_co_ci_u32_e64 v13, null, s5, v15, vcc_lo
	;; [unrolled: 3-line block ×3, first 2 shown]
	s_lshl_b64 s[4:5], s[18:19], 2
	s_branch .LBB27_4
.LBB27_3:                               ;   in Loop: Header=BB27_4 Depth=1
	s_wait_alu 0xfffe
	s_or_b32 exec_lo, exec_lo, s6
	v_add_co_u32 v18, vcc_lo, v14, v3
	s_wait_alu 0xfffd
	v_add_co_ci_u32_e64 v19, null, v15, v4, vcc_lo
	v_add_co_u32 v5, vcc_lo, v5, s4
	s_wait_alu 0xfffd
	v_add_co_ci_u32_e64 v6, null, s5, v6, vcc_lo
	;; [unrolled: 3-line block ×3, first 2 shown]
	s_delay_alu instid0(VALU_DEP_3)
	v_cmp_ge_u64_e32 vcc_lo, v[5:6], v[0:1]
	v_add_co_u32 v3, s1, v3, s4
	s_wait_alu 0xf1ff
	v_add_co_ci_u32_e64 v4, null, s5, v4, s1
	v_xor_b32_e32 v16, 0x80000000, v17
	s_or_b32 s3, vcc_lo, s3
	s_clause 0x1
	global_store_b32 v[20:21], v17, off
	global_store_b32 v[18:19], v16, off
	s_wait_alu 0xfffe
	s_and_not1_b32 exec_lo, exec_lo, s3
	s_cbranch_execz .LBB27_6
.LBB27_4:                               ; =>This Inner Loop Header: Depth=1
	v_add_co_u32 v16, vcc_lo, v2, v3
	s_wait_alu 0xfffd
	v_add_co_ci_u32_e64 v17, null, v9, v4, vcc_lo
	v_add_co_u32 v18, vcc_lo, v10, v3
	s_wait_alu 0xfffd
	v_add_co_ci_u32_e64 v19, null, v11, v4, vcc_lo
	s_clause 0x1
	global_load_b32 v16, v[16:17], off
	global_load_b32 v17, v[18:19], off
	s_wait_loadcnt 0x0
	v_dual_sub_f32 v16, v16, v17 :: v_dual_mov_b32 v17, 0
	s_delay_alu instid0(VALU_DEP_1)
	v_cmp_eq_f32_e32 vcc_lo, 0, v16
	s_and_b32 s1, s12, vcc_lo
	s_wait_alu 0xfffe
	s_nor_b32 s1, s0, s1
	s_wait_alu 0xfffe
	s_and_saveexec_b32 s6, s1
	s_cbranch_execz .LBB27_3
; %bb.5:                                ;   in Loop: Header=BB27_4 Depth=1
	v_cmp_neq_f32_e64 s1, |v16|, 1.0
	s_wait_alu 0xf1ff
	s_delay_alu instid0(VALU_DEP_1) | instskip(NEXT) | instid1(VALU_DEP_1)
	v_cndmask_b32_e64 v19, 1.0, s10, s1
	v_cmp_neq_f32_e32 vcc_lo, 0, v19
	v_cmp_neq_f32_e64 s2, v19, |v19|
	s_wait_alu 0xfffd
	v_cndmask_b32_e64 v20, 1.0, |v16|, vcc_lo
	s_delay_alu instid0(VALU_DEP_1) | instskip(NEXT) | instid1(VALU_DEP_1)
	v_frexp_mant_f32_e32 v17, v20
	v_cmp_gt_f32_e32 vcc_lo, 0x3f2aaaab, v17
	s_wait_alu 0xfffd
	v_cndmask_b32_e64 v18, 1.0, 2.0, vcc_lo
	s_delay_alu instid0(VALU_DEP_1) | instskip(NEXT) | instid1(VALU_DEP_1)
	v_mul_f32_e32 v17, v17, v18
	v_add_f32_e32 v18, 1.0, v17
	v_add_f32_e32 v22, -1.0, v17
	s_delay_alu instid0(VALU_DEP_2) | instskip(NEXT) | instid1(VALU_DEP_1)
	v_add_f32_e32 v24, -1.0, v18
	v_sub_f32_e32 v17, v17, v24
	v_rcp_f32_e32 v21, v18
	s_delay_alu instid0(TRANS32_DEP_1) | instskip(NEXT) | instid1(VALU_DEP_1)
	v_mul_f32_e32 v23, v22, v21
	v_mul_f32_e32 v25, v18, v23
	s_delay_alu instid0(VALU_DEP_1) | instskip(NEXT) | instid1(VALU_DEP_1)
	v_fma_f32 v18, v23, v18, -v25
	v_fmac_f32_e32 v18, v23, v17
	s_delay_alu instid0(VALU_DEP_1) | instskip(NEXT) | instid1(VALU_DEP_1)
	v_add_f32_e32 v17, v25, v18
	v_sub_f32_e32 v24, v22, v17
	s_delay_alu instid0(VALU_DEP_1) | instskip(NEXT) | instid1(VALU_DEP_1)
	v_dual_sub_f32 v25, v17, v25 :: v_dual_sub_f32 v22, v22, v24
	v_dual_sub_f32 v18, v25, v18 :: v_dual_sub_f32 v17, v22, v17
	s_delay_alu instid0(VALU_DEP_1) | instskip(NEXT) | instid1(VALU_DEP_1)
	v_add_f32_e32 v17, v18, v17
	v_add_f32_e32 v17, v24, v17
	s_delay_alu instid0(VALU_DEP_1) | instskip(NEXT) | instid1(VALU_DEP_1)
	v_mul_f32_e32 v17, v21, v17
	v_add_f32_e32 v21, v23, v17
	s_delay_alu instid0(VALU_DEP_1) | instskip(NEXT) | instid1(VALU_DEP_1)
	v_sub_f32_e32 v18, v21, v23
	v_sub_f32_e32 v23, v17, v18
	s_delay_alu instid0(VALU_DEP_1) | instskip(NEXT) | instid1(VALU_DEP_1)
	v_dual_mul_f32 v22, v21, v21 :: v_dual_add_f32 v17, v23, v23
	v_fma_f32 v24, v21, v21, -v22
	s_delay_alu instid0(VALU_DEP_1) | instskip(SKIP_1) | instid1(VALU_DEP_2)
	v_fmac_f32_e32 v24, v21, v17
	v_cvt_f64_f32_e32 v[17:18], v20
	v_add_f32_e32 v25, v22, v24
	s_delay_alu instid0(VALU_DEP_1) | instskip(SKIP_1) | instid1(VALU_DEP_2)
	v_fmaak_f32 v26, s11, v25, 0x3e91f4c4
	v_sub_f32_e32 v22, v25, v22
	v_fmaak_f32 v26, v25, v26, 0x3ecccdef
	s_delay_alu instid0(VALU_DEP_2) | instskip(NEXT) | instid1(VALU_DEP_2)
	v_sub_f32_e32 v22, v24, v22
	v_mul_f32_e32 v27, v25, v26
	s_delay_alu instid0(VALU_DEP_1) | instskip(NEXT) | instid1(VALU_DEP_1)
	v_fma_f32 v24, v25, v26, -v27
	v_dual_fmac_f32 v24, v22, v26 :: v_dual_mul_f32 v29, v21, v25
	s_delay_alu instid0(VALU_DEP_1) | instskip(SKIP_1) | instid1(VALU_DEP_2)
	v_add_f32_e32 v26, v27, v24
	v_frexp_exp_i32_f64_e32 v17, v[17:18]
	v_sub_f32_e32 v27, v26, v27
	s_delay_alu instid0(VALU_DEP_1) | instskip(SKIP_1) | instid1(VALU_DEP_1)
	v_sub_f32_e32 v18, v24, v27
	v_fma_f32 v27, v25, v21, -v29
	v_dual_add_f32 v28, 0x3f2aaaaa, v26 :: v_dual_fmac_f32 v27, v25, v23
	s_delay_alu instid0(VALU_DEP_1) | instskip(SKIP_1) | instid1(VALU_DEP_3)
	v_add_f32_e32 v24, 0xbf2aaaaa, v28
	v_ldexp_f32 v23, v23, 1
	v_dual_fmac_f32 v27, v22, v21 :: v_dual_add_f32 v18, 0x31739010, v18
	s_delay_alu instid0(VALU_DEP_3) | instskip(NEXT) | instid1(VALU_DEP_1)
	v_sub_f32_e32 v24, v26, v24
	v_add_f32_e32 v18, v18, v24
	s_delay_alu instid0(VALU_DEP_1) | instskip(NEXT) | instid1(VALU_DEP_1)
	v_add_f32_e32 v22, v28, v18
	v_sub_f32_e32 v25, v28, v22
	v_subrev_co_ci_u32_e64 v17, null, 0, v17, vcc_lo
	s_delay_alu instid0(VALU_DEP_2) | instskip(NEXT) | instid1(VALU_DEP_2)
	v_add_f32_e32 v18, v18, v25
	v_cvt_f32_i32_e32 v17, v17
	v_add_f32_e32 v24, v29, v27
	s_delay_alu instid0(VALU_DEP_1) | instskip(SKIP_1) | instid1(VALU_DEP_2)
	v_mul_f32_e32 v26, v24, v22
	v_sub_f32_e32 v28, v24, v29
	v_fma_f32 v25, v24, v22, -v26
	s_delay_alu instid0(VALU_DEP_2) | instskip(NEXT) | instid1(VALU_DEP_2)
	v_sub_f32_e32 v27, v27, v28
	v_fmac_f32_e32 v25, v24, v18
	v_ldexp_f32 v18, v21, 1
	s_delay_alu instid0(VALU_DEP_2) | instskip(NEXT) | instid1(VALU_DEP_1)
	v_fmac_f32_e32 v25, v27, v22
	v_add_f32_e32 v21, v26, v25
	s_delay_alu instid0(VALU_DEP_1) | instskip(SKIP_2) | instid1(VALU_DEP_3)
	v_add_f32_e32 v22, v18, v21
	v_sub_f32_e32 v24, v21, v26
	v_mul_f32_e32 v26, 0x3f317218, v17
	v_sub_f32_e32 v18, v22, v18
	s_delay_alu instid0(VALU_DEP_3) | instskip(NEXT) | instid1(VALU_DEP_3)
	v_sub_f32_e32 v24, v25, v24
	v_fma_f32 v25, 0x3f317218, v17, -v26
	s_delay_alu instid0(VALU_DEP_2) | instskip(NEXT) | instid1(VALU_DEP_2)
	v_dual_sub_f32 v18, v21, v18 :: v_dual_add_f32 v21, v23, v24
	v_fmac_f32_e32 v25, 0xb102e308, v17
	s_delay_alu instid0(VALU_DEP_2) | instskip(NEXT) | instid1(VALU_DEP_1)
	v_add_f32_e32 v17, v21, v18
	v_add_f32_e32 v21, v22, v17
	s_delay_alu instid0(VALU_DEP_1) | instskip(NEXT) | instid1(VALU_DEP_1)
	v_sub_f32_e32 v22, v21, v22
	v_dual_sub_f32 v17, v17, v22 :: v_dual_add_f32 v18, v26, v25
	s_delay_alu instid0(VALU_DEP_1) | instskip(NEXT) | instid1(VALU_DEP_1)
	v_sub_f32_e32 v26, v18, v26
	v_sub_f32_e32 v25, v25, v26
	v_add_f32_e32 v23, v18, v21
	s_delay_alu instid0(VALU_DEP_2) | instskip(NEXT) | instid1(VALU_DEP_2)
	v_add_f32_e32 v22, v25, v17
	v_sub_f32_e32 v24, v23, v18
	s_delay_alu instid0(VALU_DEP_1) | instskip(NEXT) | instid1(VALU_DEP_1)
	v_sub_f32_e32 v27, v23, v24
	v_dual_sub_f32 v21, v21, v24 :: v_dual_sub_f32 v18, v18, v27
	s_delay_alu instid0(VALU_DEP_1) | instskip(NEXT) | instid1(VALU_DEP_1)
	v_dual_add_f32 v18, v21, v18 :: v_dual_sub_f32 v21, v22, v25
	v_add_f32_e32 v18, v22, v18
	s_delay_alu instid0(VALU_DEP_2) | instskip(NEXT) | instid1(VALU_DEP_2)
	v_sub_f32_e32 v22, v22, v21
	v_dual_sub_f32 v17, v17, v21 :: v_dual_add_f32 v24, v23, v18
	s_delay_alu instid0(VALU_DEP_1) | instskip(NEXT) | instid1(VALU_DEP_1)
	v_dual_sub_f32 v21, v25, v22 :: v_dual_sub_f32 v22, v24, v23
	v_dual_add_f32 v17, v17, v21 :: v_dual_sub_f32 v18, v18, v22
	s_delay_alu instid0(VALU_DEP_1) | instskip(NEXT) | instid1(VALU_DEP_1)
	v_add_f32_e32 v17, v17, v18
	v_add_f32_e32 v18, v24, v17
	s_delay_alu instid0(VALU_DEP_1) | instskip(NEXT) | instid1(VALU_DEP_1)
	v_dual_sub_f32 v21, v18, v24 :: v_dual_mul_f32 v22, v19, v18
	v_sub_f32_e32 v17, v17, v21
	s_delay_alu instid0(VALU_DEP_2) | instskip(SKIP_1) | instid1(VALU_DEP_2)
	v_fma_f32 v18, v19, v18, -v22
	v_cmp_class_f32_e64 vcc_lo, v22, 0x204
	v_fmac_f32_e32 v18, v19, v17
	s_delay_alu instid0(VALU_DEP_1) | instskip(SKIP_1) | instid1(VALU_DEP_1)
	v_add_f32_e32 v17, v22, v18
	s_wait_alu 0xfffd
	v_cndmask_b32_e32 v21, v17, v22, vcc_lo
	s_delay_alu instid0(VALU_DEP_1) | instskip(SKIP_3) | instid1(VALU_DEP_2)
	v_cmp_eq_f32_e32 vcc_lo, 0x42b17218, v21
	s_wait_alu 0xfffd
	v_cndmask_b32_e64 v23, 0, 0x37000000, vcc_lo
	v_cmp_neq_f32_e64 vcc_lo, 0x7f800000, |v21|
	v_sub_f32_e32 v24, v21, v23
	v_sub_f32_e32 v17, v17, v22
	s_delay_alu instid0(VALU_DEP_2) | instskip(NEXT) | instid1(VALU_DEP_2)
	v_mul_f32_e32 v25, 0x3fb8aa3b, v24
	v_sub_f32_e32 v17, v18, v17
	v_cmp_nlt_f32_e64 s1, 0x42b17218, v24
	s_delay_alu instid0(VALU_DEP_3) | instskip(SKIP_4) | instid1(VALU_DEP_3)
	v_fma_f32 v26, 0x3fb8aa3b, v24, -v25
	v_rndne_f32_e32 v27, v25
	s_wait_alu 0xfffd
	v_cndmask_b32_e32 v17, 0, v17, vcc_lo
	v_cmp_ngt_f32_e32 vcc_lo, 0xc2ce8ed0, v24
	v_dual_fmac_f32 v26, 0x32a5705f, v24 :: v_dual_sub_f32 v25, v25, v27
	v_cvt_i32_f32_e32 v22, v27
	s_delay_alu instid0(VALU_DEP_4) | instskip(NEXT) | instid1(VALU_DEP_3)
	v_add_f32_e32 v17, v23, v17
	v_add_f32_e32 v25, v25, v26
	s_delay_alu instid0(VALU_DEP_1) | instskip(NEXT) | instid1(TRANS32_DEP_1)
	v_exp_f32_e32 v25, v25
	v_ldexp_f32 v18, v25, v22
	s_wait_alu 0xfffd
	s_delay_alu instid0(VALU_DEP_1) | instskip(SKIP_2) | instid1(VALU_DEP_2)
	v_cndmask_b32_e32 v18, 0, v18, vcc_lo
	v_cmp_gt_f32_e32 vcc_lo, 1.0, v20
	s_wait_alu 0xf1ff
	v_cndmask_b32_e64 v18, 0x7f800000, v18, s1
	v_cmp_lt_f32_e64 s1, 0, v16
	s_delay_alu instid0(VALU_DEP_2) | instskip(SKIP_1) | instid1(VALU_DEP_2)
	v_fma_f32 v17, v18, v17, v18
	s_wait_alu 0xf1ff
	v_cndmask_b32_e64 v21, 0, 1, s1
	s_xor_b32 s1, s2, vcc_lo
	v_cmp_neq_f32_e64 s2, 1.0, v20
	s_wait_alu 0xfffe
	v_cndmask_b32_e64 v22, 0x7f800000, 0, s1
	v_cmp_gt_f32_e32 vcc_lo, 0, v19
	v_cmp_eq_f32_e64 s1, 0, v20
	s_wait_alu 0xf1ff
	s_delay_alu instid0(VALU_DEP_3)
	v_cndmask_b32_e64 v22, 1.0, v22, s2
	v_cmp_class_f32_e64 s2, v18, 0x204
	s_xor_b32 s7, vcc_lo, s1
	v_cmp_gt_f32_e32 vcc_lo, 0, v16
	v_cndmask_b32_e64 v17, v17, v18, s2
	s_wait_alu 0xfffe
	v_cndmask_b32_e64 v18, 0x7f800000, 0, s7
	v_cmp_class_f32_e64 s7, v19, 0x204
	v_cmp_eq_f32_e64 s2, 0x7f800000, v20
	s_wait_alu 0xfffd
	v_subrev_co_ci_u32_e64 v16, null, 0, v21, vcc_lo
	s_wait_alu 0xf1ff
	v_cndmask_b32_e64 v17, |v17|, v22, s7
	s_or_b32 vcc_lo, s1, s2
	s_delay_alu instid0(VALU_DEP_2) | instskip(SKIP_1) | instid1(VALU_DEP_2)
	v_cvt_f32_i32_e32 v16, v16
	s_wait_alu 0xfffe
	v_cndmask_b32_e32 v17, v17, v18, vcc_lo
	v_cmp_o_f32_e32 vcc_lo, v20, v19
	s_wait_alu 0xfffd
	s_delay_alu instid0(VALU_DEP_2) | instskip(NEXT) | instid1(VALU_DEP_1)
	v_cndmask_b32_e32 v17, 0x7fc00000, v17, vcc_lo
	v_mul_f32_e32 v16, v17, v16
	s_delay_alu instid0(VALU_DEP_1) | instskip(NEXT) | instid1(VALU_DEP_1)
	v_mul_f32_e32 v16, v7, v16
	v_div_scale_f32 v17, null, v8, v8, v16
	s_delay_alu instid0(VALU_DEP_1) | instskip(NEXT) | instid1(TRANS32_DEP_1)
	v_rcp_f32_e32 v18, v17
	v_fma_f32 v19, -v17, v18, 1.0
	s_delay_alu instid0(VALU_DEP_1) | instskip(SKIP_1) | instid1(VALU_DEP_1)
	v_fmac_f32_e32 v18, v19, v18
	v_div_scale_f32 v19, vcc_lo, v16, v8, v16
	v_mul_f32_e32 v20, v19, v18
	s_delay_alu instid0(VALU_DEP_1) | instskip(NEXT) | instid1(VALU_DEP_1)
	v_fma_f32 v21, -v17, v20, v19
	v_fmac_f32_e32 v20, v21, v18
	s_delay_alu instid0(VALU_DEP_1) | instskip(SKIP_1) | instid1(VALU_DEP_1)
	v_fma_f32 v17, -v17, v20, v19
	s_wait_alu 0xfffd
	v_div_fmas_f32 v17, v17, v18, v20
	s_delay_alu instid0(VALU_DEP_1)
	v_div_fixup_f32 v17, v17, v8, v16
	s_branch .LBB27_3
.LBB27_6:
	s_endpgm
	.section	.rodata,"a",@progbits
	.p2align	6, 0x0
	.amdhsa_kernel _ZN2at6native12_GLOBAL__N_131pdist_backward_kernel_cuda_implIfNS1_5distsIfE6lt_twoEEEvPT_PKS6_S9_S9_llllS6_dd
		.amdhsa_group_segment_fixed_size 0
		.amdhsa_private_segment_fixed_size 0
		.amdhsa_kernarg_size 344
		.amdhsa_user_sgpr_count 2
		.amdhsa_user_sgpr_dispatch_ptr 0
		.amdhsa_user_sgpr_queue_ptr 0
		.amdhsa_user_sgpr_kernarg_segment_ptr 1
		.amdhsa_user_sgpr_dispatch_id 0
		.amdhsa_user_sgpr_private_segment_size 0
		.amdhsa_wavefront_size32 1
		.amdhsa_uses_dynamic_stack 0
		.amdhsa_enable_private_segment 0
		.amdhsa_system_sgpr_workgroup_id_x 1
		.amdhsa_system_sgpr_workgroup_id_y 1
		.amdhsa_system_sgpr_workgroup_id_z 0
		.amdhsa_system_sgpr_workgroup_info 0
		.amdhsa_system_vgpr_workitem_id 1
		.amdhsa_next_free_vgpr 30
		.amdhsa_next_free_sgpr 24
		.amdhsa_reserve_vcc 1
		.amdhsa_float_round_mode_32 0
		.amdhsa_float_round_mode_16_64 0
		.amdhsa_float_denorm_mode_32 3
		.amdhsa_float_denorm_mode_16_64 3
		.amdhsa_fp16_overflow 0
		.amdhsa_workgroup_processor_mode 1
		.amdhsa_memory_ordered 1
		.amdhsa_forward_progress 1
		.amdhsa_inst_pref_size 31
		.amdhsa_round_robin_scheduling 0
		.amdhsa_exception_fp_ieee_invalid_op 0
		.amdhsa_exception_fp_denorm_src 0
		.amdhsa_exception_fp_ieee_div_zero 0
		.amdhsa_exception_fp_ieee_overflow 0
		.amdhsa_exception_fp_ieee_underflow 0
		.amdhsa_exception_fp_ieee_inexact 0
		.amdhsa_exception_int_div_zero 0
	.end_amdhsa_kernel
	.section	.text._ZN2at6native12_GLOBAL__N_131pdist_backward_kernel_cuda_implIfNS1_5distsIfE6lt_twoEEEvPT_PKS6_S9_S9_llllS6_dd,"axG",@progbits,_ZN2at6native12_GLOBAL__N_131pdist_backward_kernel_cuda_implIfNS1_5distsIfE6lt_twoEEEvPT_PKS6_S9_S9_llllS6_dd,comdat
.Lfunc_end27:
	.size	_ZN2at6native12_GLOBAL__N_131pdist_backward_kernel_cuda_implIfNS1_5distsIfE6lt_twoEEEvPT_PKS6_S9_S9_llllS6_dd, .Lfunc_end27-_ZN2at6native12_GLOBAL__N_131pdist_backward_kernel_cuda_implIfNS1_5distsIfE6lt_twoEEEvPT_PKS6_S9_S9_llllS6_dd
                                        ; -- End function
	.set _ZN2at6native12_GLOBAL__N_131pdist_backward_kernel_cuda_implIfNS1_5distsIfE6lt_twoEEEvPT_PKS6_S9_S9_llllS6_dd.num_vgpr, 30
	.set _ZN2at6native12_GLOBAL__N_131pdist_backward_kernel_cuda_implIfNS1_5distsIfE6lt_twoEEEvPT_PKS6_S9_S9_llllS6_dd.num_agpr, 0
	.set _ZN2at6native12_GLOBAL__N_131pdist_backward_kernel_cuda_implIfNS1_5distsIfE6lt_twoEEEvPT_PKS6_S9_S9_llllS6_dd.numbered_sgpr, 24
	.set _ZN2at6native12_GLOBAL__N_131pdist_backward_kernel_cuda_implIfNS1_5distsIfE6lt_twoEEEvPT_PKS6_S9_S9_llllS6_dd.num_named_barrier, 0
	.set _ZN2at6native12_GLOBAL__N_131pdist_backward_kernel_cuda_implIfNS1_5distsIfE6lt_twoEEEvPT_PKS6_S9_S9_llllS6_dd.private_seg_size, 0
	.set _ZN2at6native12_GLOBAL__N_131pdist_backward_kernel_cuda_implIfNS1_5distsIfE6lt_twoEEEvPT_PKS6_S9_S9_llllS6_dd.uses_vcc, 1
	.set _ZN2at6native12_GLOBAL__N_131pdist_backward_kernel_cuda_implIfNS1_5distsIfE6lt_twoEEEvPT_PKS6_S9_S9_llllS6_dd.uses_flat_scratch, 0
	.set _ZN2at6native12_GLOBAL__N_131pdist_backward_kernel_cuda_implIfNS1_5distsIfE6lt_twoEEEvPT_PKS6_S9_S9_llllS6_dd.has_dyn_sized_stack, 0
	.set _ZN2at6native12_GLOBAL__N_131pdist_backward_kernel_cuda_implIfNS1_5distsIfE6lt_twoEEEvPT_PKS6_S9_S9_llllS6_dd.has_recursion, 0
	.set _ZN2at6native12_GLOBAL__N_131pdist_backward_kernel_cuda_implIfNS1_5distsIfE6lt_twoEEEvPT_PKS6_S9_S9_llllS6_dd.has_indirect_call, 0
	.section	.AMDGPU.csdata,"",@progbits
; Kernel info:
; codeLenInByte = 3844
; TotalNumSgprs: 26
; NumVgprs: 30
; ScratchSize: 0
; MemoryBound: 0
; FloatMode: 240
; IeeeMode: 1
; LDSByteSize: 0 bytes/workgroup (compile time only)
; SGPRBlocks: 0
; VGPRBlocks: 3
; NumSGPRsForWavesPerEU: 26
; NumVGPRsForWavesPerEU: 30
; Occupancy: 16
; WaveLimiterHint : 0
; COMPUTE_PGM_RSRC2:SCRATCH_EN: 0
; COMPUTE_PGM_RSRC2:USER_SGPR: 2
; COMPUTE_PGM_RSRC2:TRAP_HANDLER: 0
; COMPUTE_PGM_RSRC2:TGID_X_EN: 1
; COMPUTE_PGM_RSRC2:TGID_Y_EN: 1
; COMPUTE_PGM_RSRC2:TGID_Z_EN: 0
; COMPUTE_PGM_RSRC2:TIDIG_COMP_CNT: 1
	.section	.text._ZN2at6native12_GLOBAL__N_131pdist_backward_kernel_cuda_implIfNS1_5distsIfE3twoEEEvPT_PKS6_S9_S9_llllS6_dd,"axG",@progbits,_ZN2at6native12_GLOBAL__N_131pdist_backward_kernel_cuda_implIfNS1_5distsIfE3twoEEEvPT_PKS6_S9_S9_llllS6_dd,comdat
	.globl	_ZN2at6native12_GLOBAL__N_131pdist_backward_kernel_cuda_implIfNS1_5distsIfE3twoEEEvPT_PKS6_S9_S9_llllS6_dd ; -- Begin function _ZN2at6native12_GLOBAL__N_131pdist_backward_kernel_cuda_implIfNS1_5distsIfE3twoEEEvPT_PKS6_S9_S9_llllS6_dd
	.p2align	8
	.type	_ZN2at6native12_GLOBAL__N_131pdist_backward_kernel_cuda_implIfNS1_5distsIfE3twoEEEvPT_PKS6_S9_S9_llllS6_dd,@function
_ZN2at6native12_GLOBAL__N_131pdist_backward_kernel_cuda_implIfNS1_5distsIfE3twoEEEvPT_PKS6_S9_S9_llllS6_dd: ; @_ZN2at6native12_GLOBAL__N_131pdist_backward_kernel_cuda_implIfNS1_5distsIfE3twoEEEvPT_PKS6_S9_S9_llllS6_dd
; %bb.0:
	s_clause 0x1
	s_load_b32 s2, s[0:1], 0x64
	s_load_b512 s[4:19], s[0:1], 0x0
	v_dual_mov_b32 v2, 0 :: v_dual_and_b32 v1, 0x3ff, v0
	s_wait_kmcnt 0x0
	s_and_b32 s3, s2, 0xffff
	s_delay_alu instid0(VALU_DEP_1) | instid1(SALU_CYCLE_1)
	v_mad_co_u64_u32 v[1:2], null, s3, ttmp9, v[1:2]
	s_mov_b32 s3, exec_lo
	v_cmpx_gt_i64_e64 s[18:19], v[1:2]
	s_cbranch_execz .LBB28_6
; %bb.1:
	v_bfe_u32 v0, v0, 10, 10
	s_lshr_b32 s3, s2, 16
	s_wait_alu 0xfffe
	s_delay_alu instid0(VALU_DEP_1) | instskip(NEXT) | instid1(VALU_DEP_1)
	v_mad_co_u64_u32 v[3:4], null, ttmp7, s3, v[0:1]
	v_ashrrev_i32_e32 v4, 31, v3
	s_delay_alu instid0(VALU_DEP_1)
	v_cmp_gt_i64_e32 vcc_lo, s[16:17], v[3:4]
	s_and_b32 exec_lo, exec_lo, vcc_lo
	s_cbranch_execz .LBB28_6
; %bb.2:
	v_lshlrev_b64_e32 v[5:6], 1, v[1:2]
	s_load_b128 s[20:23], s[0:1], 0x48
	v_lshlrev_b64_e32 v[13:14], 2, v[1:2]
	s_add_nc_u64 s[0:1], s[0:1], 0x58
	v_lshlrev_b64_e32 v[3:4], 2, v[3:4]
	s_load_b32 s0, s[0:1], 0x4
	v_cvt_f64_u32_e32 v[6:7], v6
	v_cvt_f64_u32_e32 v[8:9], v5
	v_add_co_u32 v13, s2, s10, v13
	s_wait_alu 0xf1ff
	v_add_co_ci_u32_e64 v14, null, s11, v14, s2
	s_wait_kmcnt 0x0
	s_mul_i32 s2, s0, s3
	s_wait_alu 0xfffe
	s_ashr_i32 s3, s2, 31
	s_wait_alu 0xfffe
	s_lshl_b64 s[2:3], s[2:3], 2
	s_delay_alu instid0(VALU_DEP_4) | instskip(NEXT) | instid1(VALU_DEP_1)
	v_ldexp_f64 v[5:6], v[6:7], 32
	v_add_f64_e32 v[5:6], v[5:6], v[8:9]
	s_delay_alu instid0(VALU_DEP_1) | instskip(NEXT) | instid1(VALU_DEP_1)
	v_add_f64_e64 v[5:6], s[22:23], -v[5:6]
	v_cmp_gt_f64_e32 vcc_lo, 0x10000000, v[5:6]
	v_cndmask_b32_e64 v0, 0, 0x100, vcc_lo
	s_delay_alu instid0(VALU_DEP_1) | instskip(SKIP_1) | instid1(VALU_DEP_2)
	v_ldexp_f64 v[5:6], v[5:6], v0
	v_cndmask_b32_e64 v0, 0, 0xffffff80, vcc_lo
	v_rsq_f64_e32 v[7:8], v[5:6]
	v_cmp_class_f64_e64 vcc_lo, v[5:6], 0x260
	s_delay_alu instid0(TRANS32_DEP_1) | instskip(SKIP_1) | instid1(VALU_DEP_1)
	v_mul_f64_e32 v[9:10], v[5:6], v[7:8]
	v_mul_f64_e32 v[7:8], 0.5, v[7:8]
	v_fma_f64 v[11:12], -v[7:8], v[9:10], 0.5
	s_delay_alu instid0(VALU_DEP_1) | instskip(SKIP_1) | instid1(VALU_DEP_2)
	v_fma_f64 v[9:10], v[9:10], v[11:12], v[9:10]
	v_fma_f64 v[7:8], v[7:8], v[11:12], v[7:8]
	v_fma_f64 v[11:12], -v[9:10], v[9:10], v[5:6]
	s_delay_alu instid0(VALU_DEP_1) | instskip(NEXT) | instid1(VALU_DEP_1)
	v_fma_f64 v[9:10], v[11:12], v[7:8], v[9:10]
	v_fma_f64 v[11:12], -v[9:10], v[9:10], v[5:6]
	s_delay_alu instid0(VALU_DEP_1)
	v_fma_f64 v[8:9], v[11:12], v[7:8], v[9:10]
	v_mul_lo_u32 v12, v1, s13
	v_mad_co_u64_u32 v[10:11], null, v1, s12, 0
	global_load_b32 v7, v[13:14], off
	v_ldexp_f64 v[8:9], v[8:9], v0
	v_mul_lo_u32 v0, v2, s12
	s_delay_alu instid0(VALU_DEP_1) | instskip(SKIP_1) | instid1(VALU_DEP_3)
	v_add3_u32 v11, v11, v12, v0
	s_wait_alu 0xfffd
	v_dual_cndmask_b32 v6, v9, v6 :: v_dual_cndmask_b32 v5, v8, v5
	s_delay_alu instid0(VALU_DEP_2) | instskip(NEXT) | instid1(VALU_DEP_2)
	v_lshlrev_b64_e32 v[8:9], 2, v[10:11]
	v_add_f64_e64 v[5:6], s[20:21], -v[5:6]
	s_delay_alu instid0(VALU_DEP_2) | instskip(SKIP_1) | instid1(VALU_DEP_3)
	v_add_co_u32 v8, vcc_lo, s6, v8
	s_wait_alu 0xfffd
	v_add_co_ci_u32_e64 v9, null, s7, v9, vcc_lo
	s_lshl_b64 s[6:7], s[16:17], 2
	global_load_b32 v8, v[8:9], off
	v_trunc_f64_e32 v[5:6], v[5:6]
	s_delay_alu instid0(VALU_DEP_1) | instskip(NEXT) | instid1(VALU_DEP_1)
	v_ldexp_f64 v[9:10], v[5:6], 0xffffffe0
	v_floor_f64_e32 v[9:10], v[9:10]
	s_delay_alu instid0(VALU_DEP_1) | instskip(NEXT) | instid1(VALU_DEP_1)
	v_fma_f64 v[5:6], 0xc1f00000, v[9:10], v[5:6]
	v_cvt_u32_f64_e32 v5, v[5:6]
	v_cvt_i32_f64_e32 v6, v[9:10]
	s_delay_alu instid0(VALU_DEP_2) | instskip(SKIP_1) | instid1(VALU_DEP_2)
	v_add_co_u32 v16, vcc_lo, v5, 1
	s_wait_alu 0xfffd
	v_add_co_ci_u32_e64 v17, null, 0, v6, vcc_lo
	v_mul_lo_u32 v19, s14, v6
	s_delay_alu instid0(VALU_DEP_3) | instskip(NEXT) | instid1(VALU_DEP_3)
	v_mad_co_u64_u32 v[9:10], null, v16, v5, 0
	v_mul_lo_u32 v0, v17, v5
	v_mul_lo_u32 v11, v16, v6
	;; [unrolled: 1-line block ×3, first 2 shown]
	v_mad_co_u64_u32 v[12:13], null, s14, v5, 0
	v_sub_co_u32 v22, vcc_lo, s14, v5
	s_wait_alu 0xfffd
	v_sub_co_ci_u32_e64 v23, null, s15, v6, vcc_lo
	v_add3_u32 v0, v10, v11, v0
	v_mul_lo_u32 v18, s16, v6
	v_mul_lo_u32 v20, s17, v5
	v_mad_co_u64_u32 v[10:11], null, s16, v5, 0
	s_delay_alu instid0(VALU_DEP_4) | instskip(SKIP_2) | instid1(VALU_DEP_2)
	v_lshrrev_b32_e32 v14, 31, v0
	s_wait_loadcnt 0x1
	v_cmp_neq_f32_e64 s0, 0, v7
	v_add_co_u32 v14, vcc_lo, v9, v14
	s_wait_alu 0xfffd
	v_add_co_ci_u32_e64 v15, null, 0, v0, vcc_lo
	v_add3_u32 v9, v13, v19, v21
	v_add_co_u32 v22, vcc_lo, v22, -2
	s_delay_alu instid0(VALU_DEP_3)
	v_ashrrev_i64 v[13:14], 1, v[14:15]
	s_wait_alu 0xfffd
	v_add_co_ci_u32_e64 v0, null, -1, v23, vcc_lo
	v_sub_co_u32 v1, vcc_lo, v1, v12
	s_wait_alu 0xfffd
	v_sub_co_ci_u32_e64 v2, null, v2, v9, vcc_lo
	v_add3_u32 v11, v11, v18, v20
	s_delay_alu instid0(VALU_DEP_3) | instskip(SKIP_1) | instid1(VALU_DEP_3)
	v_add_co_u32 v9, vcc_lo, v13, v1
	s_wait_alu 0xfffd
	v_add_co_ci_u32_e64 v2, null, v14, v2, vcc_lo
	v_mul_lo_u32 v19, v0, s14
	v_lshlrev_b64_e32 v[0:1], 2, v[10:11]
	v_add_co_u32 v10, vcc_lo, v16, v9
	s_wait_alu 0xfffd
	v_add_co_ci_u32_e64 v11, null, v17, v2, vcc_lo
	v_mul_lo_u32 v14, v9, s15
	v_mul_lo_u32 v15, v2, s14
	v_mad_co_u64_u32 v[5:6], null, v9, s14, v[5:6]
	v_mul_lo_u32 v18, v22, s15
	v_mad_co_u64_u32 v[12:13], null, v22, s14, v[10:11]
	v_mul_lo_u32 v16, v11, s16
	v_mul_lo_u32 v17, v10, s17
	v_mad_co_u64_u32 v[10:11], null, v10, s16, 0
	v_add3_u32 v6, v15, v6, v14
	v_mul_lo_u32 v20, v5, s17
	v_mad_co_u64_u32 v[14:15], null, v5, s16, 0
	v_add_co_u32 v2, vcc_lo, s8, v0
	s_delay_alu instid0(VALU_DEP_4) | instskip(SKIP_4) | instid1(VALU_DEP_4)
	v_mul_lo_u32 v5, v6, s16
	v_add3_u32 v6, v19, v13, v18
	v_add3_u32 v11, v11, v17, v16
	v_mul_lo_u32 v16, s17, v12
	v_mad_co_u64_u32 v[12:13], null, s16, v12, 0
	v_mul_lo_u32 v17, s16, v6
	s_wait_alu 0xfffd
	v_add_co_ci_u32_e64 v9, null, s9, v1, vcc_lo
	v_add3_u32 v15, v15, v20, v5
	v_lshlrev_b64_e32 v[10:11], 2, v[10:11]
	s_wait_alu 0xfffe
	v_add_co_u32 v0, vcc_lo, v2, s6
	s_wait_alu 0xfffd
	v_add_co_ci_u32_e64 v1, null, s7, v9, vcc_lo
	v_add3_u32 v13, v13, v17, v16
	v_lshlrev_b64_e32 v[14:15], 2, v[14:15]
	v_add_co_u32 v5, vcc_lo, v2, v3
	s_wait_alu 0xfffd
	v_add_co_ci_u32_e64 v6, null, v9, v4, vcc_lo
	v_lshlrev_b64_e32 v[16:17], 2, v[12:13]
	v_add_co_u32 v10, vcc_lo, s8, v10
	s_wait_alu 0xfffd
	v_add_co_ci_u32_e64 v11, null, s9, v11, vcc_lo
	v_add_co_u32 v12, vcc_lo, s4, v14
	s_wait_alu 0xfffd
	v_add_co_ci_u32_e64 v13, null, s5, v15, vcc_lo
	;; [unrolled: 3-line block ×3, first 2 shown]
	s_mov_b32 s4, 0
	s_branch .LBB28_4
.LBB28_3:                               ;   in Loop: Header=BB28_4 Depth=1
	s_wait_alu 0xfffe
	s_or_b32 exec_lo, exec_lo, s1
	v_add_co_u32 v17, vcc_lo, v14, v3
	s_wait_alu 0xfffd
	v_add_co_ci_u32_e64 v18, null, v15, v4, vcc_lo
	v_add_co_u32 v5, vcc_lo, v5, s2
	s_wait_alu 0xfffd
	v_add_co_ci_u32_e64 v6, null, s3, v6, vcc_lo
	;; [unrolled: 3-line block ×3, first 2 shown]
	s_delay_alu instid0(VALU_DEP_3)
	v_cmp_ge_u64_e32 vcc_lo, v[5:6], v[0:1]
	v_add_co_u32 v3, s1, v3, s2
	s_wait_alu 0xf1ff
	v_add_co_ci_u32_e64 v4, null, s3, v4, s1
	v_xor_b32_e32 v21, 0x80000000, v16
	s_or_b32 s4, vcc_lo, s4
	s_clause 0x1
	global_store_b32 v[19:20], v16, off
	global_store_b32 v[17:18], v21, off
	s_wait_alu 0xfffe
	s_and_not1_b32 exec_lo, exec_lo, s4
	s_cbranch_execz .LBB28_6
.LBB28_4:                               ; =>This Inner Loop Header: Depth=1
	v_mov_b32_e32 v16, 0
	s_and_saveexec_b32 s1, s0
	s_cbranch_execz .LBB28_3
; %bb.5:                                ;   in Loop: Header=BB28_4 Depth=1
	v_add_co_u32 v16, vcc_lo, v2, v3
	s_wait_alu 0xfffd
	v_add_co_ci_u32_e64 v17, null, v9, v4, vcc_lo
	v_add_co_u32 v18, vcc_lo, v10, v3
	s_wait_alu 0xfffd
	v_add_co_ci_u32_e64 v19, null, v11, v4, vcc_lo
	s_clause 0x1
	global_load_b32 v16, v[16:17], off
	global_load_b32 v17, v[18:19], off
	s_wait_loadcnt 0x0
	v_sub_f32_e32 v16, v16, v17
	s_delay_alu instid0(VALU_DEP_1) | instskip(NEXT) | instid1(VALU_DEP_1)
	v_mul_f32_e32 v16, v8, v16
	v_div_scale_f32 v17, null, v7, v7, v16
	s_delay_alu instid0(VALU_DEP_1) | instskip(NEXT) | instid1(TRANS32_DEP_1)
	v_rcp_f32_e32 v18, v17
	v_fma_f32 v19, -v17, v18, 1.0
	s_delay_alu instid0(VALU_DEP_1) | instskip(SKIP_1) | instid1(VALU_DEP_1)
	v_fmac_f32_e32 v18, v19, v18
	v_div_scale_f32 v19, vcc_lo, v16, v7, v16
	v_mul_f32_e32 v20, v19, v18
	s_delay_alu instid0(VALU_DEP_1) | instskip(NEXT) | instid1(VALU_DEP_1)
	v_fma_f32 v21, -v17, v20, v19
	v_fmac_f32_e32 v20, v21, v18
	s_delay_alu instid0(VALU_DEP_1) | instskip(SKIP_1) | instid1(VALU_DEP_1)
	v_fma_f32 v17, -v17, v20, v19
	s_wait_alu 0xfffd
	v_div_fmas_f32 v17, v17, v18, v20
	s_delay_alu instid0(VALU_DEP_1)
	v_div_fixup_f32 v16, v17, v7, v16
	s_branch .LBB28_3
.LBB28_6:
	s_endpgm
	.section	.rodata,"a",@progbits
	.p2align	6, 0x0
	.amdhsa_kernel _ZN2at6native12_GLOBAL__N_131pdist_backward_kernel_cuda_implIfNS1_5distsIfE3twoEEEvPT_PKS6_S9_S9_llllS6_dd
		.amdhsa_group_segment_fixed_size 0
		.amdhsa_private_segment_fixed_size 0
		.amdhsa_kernarg_size 344
		.amdhsa_user_sgpr_count 2
		.amdhsa_user_sgpr_dispatch_ptr 0
		.amdhsa_user_sgpr_queue_ptr 0
		.amdhsa_user_sgpr_kernarg_segment_ptr 1
		.amdhsa_user_sgpr_dispatch_id 0
		.amdhsa_user_sgpr_private_segment_size 0
		.amdhsa_wavefront_size32 1
		.amdhsa_uses_dynamic_stack 0
		.amdhsa_enable_private_segment 0
		.amdhsa_system_sgpr_workgroup_id_x 1
		.amdhsa_system_sgpr_workgroup_id_y 1
		.amdhsa_system_sgpr_workgroup_id_z 0
		.amdhsa_system_sgpr_workgroup_info 0
		.amdhsa_system_vgpr_workitem_id 1
		.amdhsa_next_free_vgpr 24
		.amdhsa_next_free_sgpr 24
		.amdhsa_reserve_vcc 1
		.amdhsa_float_round_mode_32 0
		.amdhsa_float_round_mode_16_64 0
		.amdhsa_float_denorm_mode_32 3
		.amdhsa_float_denorm_mode_16_64 3
		.amdhsa_fp16_overflow 0
		.amdhsa_workgroup_processor_mode 1
		.amdhsa_memory_ordered 1
		.amdhsa_forward_progress 1
		.amdhsa_inst_pref_size 12
		.amdhsa_round_robin_scheduling 0
		.amdhsa_exception_fp_ieee_invalid_op 0
		.amdhsa_exception_fp_denorm_src 0
		.amdhsa_exception_fp_ieee_div_zero 0
		.amdhsa_exception_fp_ieee_overflow 0
		.amdhsa_exception_fp_ieee_underflow 0
		.amdhsa_exception_fp_ieee_inexact 0
		.amdhsa_exception_int_div_zero 0
	.end_amdhsa_kernel
	.section	.text._ZN2at6native12_GLOBAL__N_131pdist_backward_kernel_cuda_implIfNS1_5distsIfE3twoEEEvPT_PKS6_S9_S9_llllS6_dd,"axG",@progbits,_ZN2at6native12_GLOBAL__N_131pdist_backward_kernel_cuda_implIfNS1_5distsIfE3twoEEEvPT_PKS6_S9_S9_llllS6_dd,comdat
.Lfunc_end28:
	.size	_ZN2at6native12_GLOBAL__N_131pdist_backward_kernel_cuda_implIfNS1_5distsIfE3twoEEEvPT_PKS6_S9_S9_llllS6_dd, .Lfunc_end28-_ZN2at6native12_GLOBAL__N_131pdist_backward_kernel_cuda_implIfNS1_5distsIfE3twoEEEvPT_PKS6_S9_S9_llllS6_dd
                                        ; -- End function
	.set _ZN2at6native12_GLOBAL__N_131pdist_backward_kernel_cuda_implIfNS1_5distsIfE3twoEEEvPT_PKS6_S9_S9_llllS6_dd.num_vgpr, 24
	.set _ZN2at6native12_GLOBAL__N_131pdist_backward_kernel_cuda_implIfNS1_5distsIfE3twoEEEvPT_PKS6_S9_S9_llllS6_dd.num_agpr, 0
	.set _ZN2at6native12_GLOBAL__N_131pdist_backward_kernel_cuda_implIfNS1_5distsIfE3twoEEEvPT_PKS6_S9_S9_llllS6_dd.numbered_sgpr, 24
	.set _ZN2at6native12_GLOBAL__N_131pdist_backward_kernel_cuda_implIfNS1_5distsIfE3twoEEEvPT_PKS6_S9_S9_llllS6_dd.num_named_barrier, 0
	.set _ZN2at6native12_GLOBAL__N_131pdist_backward_kernel_cuda_implIfNS1_5distsIfE3twoEEEvPT_PKS6_S9_S9_llllS6_dd.private_seg_size, 0
	.set _ZN2at6native12_GLOBAL__N_131pdist_backward_kernel_cuda_implIfNS1_5distsIfE3twoEEEvPT_PKS6_S9_S9_llllS6_dd.uses_vcc, 1
	.set _ZN2at6native12_GLOBAL__N_131pdist_backward_kernel_cuda_implIfNS1_5distsIfE3twoEEEvPT_PKS6_S9_S9_llllS6_dd.uses_flat_scratch, 0
	.set _ZN2at6native12_GLOBAL__N_131pdist_backward_kernel_cuda_implIfNS1_5distsIfE3twoEEEvPT_PKS6_S9_S9_llllS6_dd.has_dyn_sized_stack, 0
	.set _ZN2at6native12_GLOBAL__N_131pdist_backward_kernel_cuda_implIfNS1_5distsIfE3twoEEEvPT_PKS6_S9_S9_llllS6_dd.has_recursion, 0
	.set _ZN2at6native12_GLOBAL__N_131pdist_backward_kernel_cuda_implIfNS1_5distsIfE3twoEEEvPT_PKS6_S9_S9_llllS6_dd.has_indirect_call, 0
	.section	.AMDGPU.csdata,"",@progbits
; Kernel info:
; codeLenInByte = 1488
; TotalNumSgprs: 26
; NumVgprs: 24
; ScratchSize: 0
; MemoryBound: 0
; FloatMode: 240
; IeeeMode: 1
; LDSByteSize: 0 bytes/workgroup (compile time only)
; SGPRBlocks: 0
; VGPRBlocks: 2
; NumSGPRsForWavesPerEU: 26
; NumVGPRsForWavesPerEU: 24
; Occupancy: 16
; WaveLimiterHint : 0
; COMPUTE_PGM_RSRC2:SCRATCH_EN: 0
; COMPUTE_PGM_RSRC2:USER_SGPR: 2
; COMPUTE_PGM_RSRC2:TRAP_HANDLER: 0
; COMPUTE_PGM_RSRC2:TGID_X_EN: 1
; COMPUTE_PGM_RSRC2:TGID_Y_EN: 1
; COMPUTE_PGM_RSRC2:TGID_Z_EN: 0
; COMPUTE_PGM_RSRC2:TIDIG_COMP_CNT: 1
	.section	.text._ZN2at6native12_GLOBAL__N_131pdist_backward_kernel_cuda_implIfNS1_5distsIfE3infEEEvPT_PKS6_S9_S9_llllS6_dd,"axG",@progbits,_ZN2at6native12_GLOBAL__N_131pdist_backward_kernel_cuda_implIfNS1_5distsIfE3infEEEvPT_PKS6_S9_S9_llllS6_dd,comdat
	.globl	_ZN2at6native12_GLOBAL__N_131pdist_backward_kernel_cuda_implIfNS1_5distsIfE3infEEEvPT_PKS6_S9_S9_llllS6_dd ; -- Begin function _ZN2at6native12_GLOBAL__N_131pdist_backward_kernel_cuda_implIfNS1_5distsIfE3infEEEvPT_PKS6_S9_S9_llllS6_dd
	.p2align	8
	.type	_ZN2at6native12_GLOBAL__N_131pdist_backward_kernel_cuda_implIfNS1_5distsIfE3infEEEvPT_PKS6_S9_S9_llllS6_dd,@function
_ZN2at6native12_GLOBAL__N_131pdist_backward_kernel_cuda_implIfNS1_5distsIfE3infEEEvPT_PKS6_S9_S9_llllS6_dd: ; @_ZN2at6native12_GLOBAL__N_131pdist_backward_kernel_cuda_implIfNS1_5distsIfE3infEEEvPT_PKS6_S9_S9_llllS6_dd
; %bb.0:
	s_clause 0x1
	s_load_b32 s2, s[0:1], 0x64
	s_load_b512 s[4:19], s[0:1], 0x0
	v_dual_mov_b32 v2, 0 :: v_dual_and_b32 v1, 0x3ff, v0
	s_wait_kmcnt 0x0
	s_and_b32 s3, s2, 0xffff
	s_delay_alu instid0(VALU_DEP_1) | instid1(SALU_CYCLE_1)
	v_mad_co_u64_u32 v[2:3], null, s3, ttmp9, v[1:2]
	s_mov_b32 s3, exec_lo
	v_cmpx_gt_i64_e64 s[18:19], v[2:3]
	s_cbranch_execz .LBB29_4
; %bb.1:
	v_bfe_u32 v0, v0, 10, 10
	s_lshr_b32 s2, s2, 16
	s_wait_alu 0xfffe
	s_delay_alu instid0(VALU_DEP_1) | instskip(NEXT) | instid1(VALU_DEP_1)
	v_mad_co_u64_u32 v[0:1], null, ttmp7, s2, v[0:1]
	v_ashrrev_i32_e32 v1, 31, v0
	s_delay_alu instid0(VALU_DEP_1)
	v_cmp_gt_i64_e32 vcc_lo, s[16:17], v[0:1]
	s_and_b32 exec_lo, exec_lo, vcc_lo
	s_cbranch_execz .LBB29_4
; %bb.2:
	v_lshlrev_b64_e32 v[4:5], 1, v[2:3]
	s_load_b128 s[20:23], s[0:1], 0x48
	s_add_nc_u64 s[0:1], s[0:1], 0x58
	v_lshlrev_b64_e32 v[0:1], 2, v[0:1]
	s_delay_alu instid0(VALU_DEP_2) | instskip(NEXT) | instid1(VALU_DEP_3)
	v_cvt_f64_u32_e32 v[5:6], v5
	v_cvt_f64_u32_e32 v[7:8], v4
	s_delay_alu instid0(VALU_DEP_2) | instskip(NEXT) | instid1(VALU_DEP_1)
	v_ldexp_f64 v[4:5], v[5:6], 32
	v_add_f64_e32 v[4:5], v[4:5], v[7:8]
	s_wait_kmcnt 0x0
	s_delay_alu instid0(VALU_DEP_1) | instskip(NEXT) | instid1(VALU_DEP_1)
	v_add_f64_e64 v[4:5], s[22:23], -v[4:5]
	v_cmp_gt_f64_e32 vcc_lo, 0x10000000, v[4:5]
	v_cndmask_b32_e64 v6, 0, 0x100, vcc_lo
	s_delay_alu instid0(VALU_DEP_1) | instskip(NEXT) | instid1(VALU_DEP_1)
	v_ldexp_f64 v[4:5], v[4:5], v6
	v_rsq_f64_e32 v[6:7], v[4:5]
	s_delay_alu instid0(TRANS32_DEP_1) | instskip(SKIP_1) | instid1(VALU_DEP_1)
	v_mul_f64_e32 v[8:9], v[4:5], v[6:7]
	v_mul_f64_e32 v[6:7], 0.5, v[6:7]
	v_fma_f64 v[10:11], -v[6:7], v[8:9], 0.5
	s_delay_alu instid0(VALU_DEP_1) | instskip(SKIP_1) | instid1(VALU_DEP_2)
	v_fma_f64 v[8:9], v[8:9], v[10:11], v[8:9]
	v_fma_f64 v[6:7], v[6:7], v[10:11], v[6:7]
	v_fma_f64 v[10:11], -v[8:9], v[8:9], v[4:5]
	s_delay_alu instid0(VALU_DEP_1) | instskip(NEXT) | instid1(VALU_DEP_1)
	v_fma_f64 v[8:9], v[10:11], v[6:7], v[8:9]
	v_fma_f64 v[10:11], -v[8:9], v[8:9], v[4:5]
	s_delay_alu instid0(VALU_DEP_1) | instskip(SKIP_4) | instid1(VALU_DEP_4)
	v_fma_f64 v[6:7], v[10:11], v[6:7], v[8:9]
	v_cndmask_b32_e64 v8, 0, 0xffffff80, vcc_lo
	v_cmp_class_f64_e64 vcc_lo, v[4:5], 0x260
	v_mul_lo_u32 v10, v3, s12
	v_mul_lo_u32 v11, v2, s13
	v_ldexp_f64 v[6:7], v[6:7], v8
	v_mad_co_u64_u32 v[8:9], null, v2, s12, 0
	s_delay_alu instid0(VALU_DEP_1) | instskip(NEXT) | instid1(VALU_DEP_1)
	v_add3_u32 v9, v9, v11, v10
	v_lshlrev_b64_e32 v[8:9], 2, v[8:9]
	s_wait_alu 0xfffd
	s_delay_alu instid0(VALU_DEP_4) | instskip(SKIP_1) | instid1(VALU_DEP_2)
	v_dual_cndmask_b32 v5, v7, v5 :: v_dual_cndmask_b32 v4, v6, v4
	v_lshlrev_b64_e32 v[6:7], 2, v[2:3]
	v_add_f64_e64 v[4:5], s[20:21], -v[4:5]
	s_delay_alu instid0(VALU_DEP_2) | instskip(SKIP_1) | instid1(VALU_DEP_3)
	v_add_co_u32 v6, vcc_lo, s10, v6
	s_wait_alu 0xfffd
	v_add_co_ci_u32_e64 v7, null, s11, v7, vcc_lo
	v_add_co_u32 v8, vcc_lo, s6, v8
	s_wait_alu 0xfffd
	v_add_co_ci_u32_e64 v9, null, s7, v9, vcc_lo
	global_load_b32 v6, v[6:7], off
	global_load_b32 v7, v[8:9], off
	s_load_b32 s3, s[0:1], 0x4
	s_lshl_b64 s[0:1], s[16:17], 2
	s_wait_kmcnt 0x0
	s_mul_i32 s2, s3, s2
	s_wait_alu 0xfffe
	s_ashr_i32 s3, s2, 31
	s_wait_alu 0xfffe
	s_lshl_b64 s[2:3], s[2:3], 2
	v_trunc_f64_e32 v[4:5], v[4:5]
	s_delay_alu instid0(VALU_DEP_1) | instskip(NEXT) | instid1(VALU_DEP_1)
	v_ldexp_f64 v[8:9], v[4:5], 0xffffffe0
	v_floor_f64_e32 v[8:9], v[8:9]
	s_delay_alu instid0(VALU_DEP_1) | instskip(NEXT) | instid1(VALU_DEP_1)
	v_fma_f64 v[4:5], 0xc1f00000, v[8:9], v[4:5]
	v_cvt_u32_f64_e32 v4, v[4:5]
	v_cvt_i32_f64_e32 v5, v[8:9]
	s_delay_alu instid0(VALU_DEP_2) | instskip(SKIP_1) | instid1(VALU_DEP_2)
	v_add_co_u32 v15, vcc_lo, v4, 1
	s_wait_alu 0xfffd
	v_add_co_ci_u32_e64 v16, null, 0, v5, vcc_lo
	v_mul_lo_u32 v17, s16, v5
	s_delay_alu instid0(VALU_DEP_3) | instskip(NEXT) | instid1(VALU_DEP_3)
	v_mad_co_u64_u32 v[8:9], null, v15, v4, 0
	v_mul_lo_u32 v10, v16, v4
	v_mul_lo_u32 v11, v15, v5
	;; [unrolled: 1-line block ×5, first 2 shown]
	v_sub_co_u32 v21, vcc_lo, s14, v4
	s_wait_alu 0xfffd
	v_sub_co_ci_u32_e64 v22, null, s15, v5, vcc_lo
	v_add3_u32 v14, v9, v11, v10
	v_mad_co_u64_u32 v[9:10], null, s16, v4, 0
	v_mad_co_u64_u32 v[11:12], null, s14, v4, 0
	s_delay_alu instid0(VALU_DEP_3) | instskip(NEXT) | instid1(VALU_DEP_3)
	v_lshrrev_b32_e32 v13, 31, v14
	v_add3_u32 v10, v10, v17, v19
	s_delay_alu instid0(VALU_DEP_2) | instskip(SKIP_4) | instid1(VALU_DEP_3)
	v_add_co_u32 v13, vcc_lo, v8, v13
	s_wait_alu 0xfffd
	v_add_co_ci_u32_e64 v14, null, 0, v14, vcc_lo
	v_add3_u32 v17, v12, v18, v20
	v_add_co_u32 v21, vcc_lo, v21, -2
	v_ashrrev_i64 v[12:13], 1, v[13:14]
	s_wait_alu 0xfffd
	v_add_co_ci_u32_e64 v8, null, -1, v22, vcc_lo
	v_sub_co_u32 v2, vcc_lo, v2, v11
	s_wait_alu 0xfffd
	v_sub_co_ci_u32_e64 v3, null, v3, v17, vcc_lo
	s_delay_alu instid0(VALU_DEP_3) | instskip(NEXT) | instid1(VALU_DEP_3)
	v_mul_lo_u32 v17, v8, s14
	v_add_co_u32 v8, vcc_lo, v12, v2
	s_wait_alu 0xfffd
	s_delay_alu instid0(VALU_DEP_3) | instskip(SKIP_1) | instid1(VALU_DEP_3)
	v_add_co_ci_u32_e64 v12, null, v13, v3, vcc_lo
	v_lshlrev_b64_e32 v[2:3], 2, v[9:10]
	v_add_co_u32 v10, vcc_lo, v15, v8
	s_wait_alu 0xfffd
	s_delay_alu instid0(VALU_DEP_3)
	v_add_co_ci_u32_e64 v11, null, v16, v12, vcc_lo
	v_mul_lo_u32 v14, v8, s15
	v_mul_lo_u32 v15, v12, s14
	v_mad_co_u64_u32 v[4:5], null, v8, s14, v[4:5]
	v_mul_lo_u32 v18, v21, s15
	v_mad_co_u64_u32 v[12:13], null, v21, s14, v[10:11]
	v_mul_lo_u32 v16, v11, s16
	v_mul_lo_u32 v19, v10, s17
	v_mad_co_u64_u32 v[10:11], null, v10, s16, 0
	v_add3_u32 v5, v15, v5, v14
	v_mul_lo_u32 v20, v4, s17
	v_mad_co_u64_u32 v[14:15], null, v4, s16, 0
	v_add_co_u32 v8, vcc_lo, s8, v2
	s_delay_alu instid0(VALU_DEP_4) | instskip(SKIP_4) | instid1(VALU_DEP_4)
	v_mul_lo_u32 v4, v5, s16
	v_add3_u32 v5, v17, v13, v18
	v_add3_u32 v11, v11, v19, v16
	v_mul_lo_u32 v16, s17, v12
	v_mad_co_u64_u32 v[12:13], null, s16, v12, 0
	v_mul_lo_u32 v17, s16, v5
	s_wait_alu 0xfffd
	v_add_co_ci_u32_e64 v9, null, s9, v3, vcc_lo
	v_add3_u32 v15, v15, v20, v4
	v_lshlrev_b64_e32 v[10:11], 2, v[10:11]
	v_add_co_u32 v2, vcc_lo, v8, s0
	s_wait_alu 0xfffd
	v_add_co_ci_u32_e64 v3, null, s1, v9, vcc_lo
	v_add3_u32 v13, v13, v17, v16
	v_lshlrev_b64_e32 v[14:15], 2, v[14:15]
	v_add_co_u32 v4, vcc_lo, v8, v0
	s_wait_alu 0xfffd
	v_add_co_ci_u32_e64 v5, null, v9, v1, vcc_lo
	v_lshlrev_b64_e32 v[16:17], 2, v[12:13]
	v_add_co_u32 v10, vcc_lo, s8, v10
	s_wait_alu 0xfffd
	v_add_co_ci_u32_e64 v11, null, s9, v11, vcc_lo
	v_add_co_u32 v12, vcc_lo, s4, v14
	s_wait_alu 0xfffd
	v_add_co_ci_u32_e64 v13, null, s5, v15, vcc_lo
	;; [unrolled: 3-line block ×3, first 2 shown]
	s_mov_b32 s1, 0
.LBB29_3:                               ; =>This Inner Loop Header: Depth=1
	v_add_co_u32 v16, vcc_lo, v8, v0
	s_wait_alu 0xfffd
	v_add_co_ci_u32_e64 v17, null, v9, v1, vcc_lo
	v_add_co_u32 v18, vcc_lo, v10, v0
	s_wait_alu 0xfffd
	v_add_co_ci_u32_e64 v19, null, v11, v1, vcc_lo
	s_clause 0x1
	global_load_b32 v16, v[16:17], off
	global_load_b32 v17, v[18:19], off
	s_wait_loadcnt 0x0
	v_sub_f32_e32 v18, v16, v17
	s_delay_alu instid0(VALU_DEP_1)
	v_cmp_lt_f32_e32 vcc_lo, 0, v18
	v_cmp_gt_f32_e64 s0, 0, v18
	s_wait_alu 0xfffd
	v_cndmask_b32_e64 v17, 0, 1, vcc_lo
	v_add_co_u32 v16, vcc_lo, v14, v0
	s_wait_alu 0xf1ff
	s_delay_alu instid0(VALU_DEP_2)
	v_subrev_co_ci_u32_e64 v19, null, 0, v17, s0
	s_wait_alu 0xfffd
	v_add_co_ci_u32_e64 v17, null, v15, v1, vcc_lo
	s_wait_alu 0xfffe
	v_add_co_u32 v4, vcc_lo, v4, s2
	v_cvt_f32_i32_e32 v19, v19
	s_wait_alu 0xfffd
	v_add_co_ci_u32_e64 v5, null, s3, v5, vcc_lo
	s_delay_alu instid0(VALU_DEP_2)
	v_mul_f32_e32 v21, v7, v19
	v_cmp_eq_f32_e64 s0, |v18|, v6
	v_add_co_u32 v18, vcc_lo, v12, v0
	s_wait_alu 0xfffd
	v_add_co_ci_u32_e64 v19, null, v13, v1, vcc_lo
	s_wait_alu 0xf1ff
	v_cndmask_b32_e64 v20, 0, 1.0, s0
	v_cmp_ge_u64_e32 vcc_lo, v[4:5], v[2:3]
	v_add_co_u32 v0, s0, v0, s2
	s_wait_alu 0xf1ff
	v_add_co_ci_u32_e64 v1, null, s3, v1, s0
	v_mul_f32_e32 v20, v21, v20
	s_or_b32 s1, vcc_lo, s1
	s_delay_alu instid0(VALU_DEP_1)
	v_xor_b32_e32 v21, 0x80000000, v20
	s_clause 0x1
	global_store_b32 v[18:19], v20, off
	global_store_b32 v[16:17], v21, off
	s_wait_alu 0xfffe
	s_and_not1_b32 exec_lo, exec_lo, s1
	s_cbranch_execnz .LBB29_3
.LBB29_4:
	s_endpgm
	.section	.rodata,"a",@progbits
	.p2align	6, 0x0
	.amdhsa_kernel _ZN2at6native12_GLOBAL__N_131pdist_backward_kernel_cuda_implIfNS1_5distsIfE3infEEEvPT_PKS6_S9_S9_llllS6_dd
		.amdhsa_group_segment_fixed_size 0
		.amdhsa_private_segment_fixed_size 0
		.amdhsa_kernarg_size 344
		.amdhsa_user_sgpr_count 2
		.amdhsa_user_sgpr_dispatch_ptr 0
		.amdhsa_user_sgpr_queue_ptr 0
		.amdhsa_user_sgpr_kernarg_segment_ptr 1
		.amdhsa_user_sgpr_dispatch_id 0
		.amdhsa_user_sgpr_private_segment_size 0
		.amdhsa_wavefront_size32 1
		.amdhsa_uses_dynamic_stack 0
		.amdhsa_enable_private_segment 0
		.amdhsa_system_sgpr_workgroup_id_x 1
		.amdhsa_system_sgpr_workgroup_id_y 1
		.amdhsa_system_sgpr_workgroup_id_z 0
		.amdhsa_system_sgpr_workgroup_info 0
		.amdhsa_system_vgpr_workitem_id 1
		.amdhsa_next_free_vgpr 23
		.amdhsa_next_free_sgpr 24
		.amdhsa_reserve_vcc 1
		.amdhsa_float_round_mode_32 0
		.amdhsa_float_round_mode_16_64 0
		.amdhsa_float_denorm_mode_32 3
		.amdhsa_float_denorm_mode_16_64 3
		.amdhsa_fp16_overflow 0
		.amdhsa_workgroup_processor_mode 1
		.amdhsa_memory_ordered 1
		.amdhsa_forward_progress 1
		.amdhsa_inst_pref_size 12
		.amdhsa_round_robin_scheduling 0
		.amdhsa_exception_fp_ieee_invalid_op 0
		.amdhsa_exception_fp_denorm_src 0
		.amdhsa_exception_fp_ieee_div_zero 0
		.amdhsa_exception_fp_ieee_overflow 0
		.amdhsa_exception_fp_ieee_underflow 0
		.amdhsa_exception_fp_ieee_inexact 0
		.amdhsa_exception_int_div_zero 0
	.end_amdhsa_kernel
	.section	.text._ZN2at6native12_GLOBAL__N_131pdist_backward_kernel_cuda_implIfNS1_5distsIfE3infEEEvPT_PKS6_S9_S9_llllS6_dd,"axG",@progbits,_ZN2at6native12_GLOBAL__N_131pdist_backward_kernel_cuda_implIfNS1_5distsIfE3infEEEvPT_PKS6_S9_S9_llllS6_dd,comdat
.Lfunc_end29:
	.size	_ZN2at6native12_GLOBAL__N_131pdist_backward_kernel_cuda_implIfNS1_5distsIfE3infEEEvPT_PKS6_S9_S9_llllS6_dd, .Lfunc_end29-_ZN2at6native12_GLOBAL__N_131pdist_backward_kernel_cuda_implIfNS1_5distsIfE3infEEEvPT_PKS6_S9_S9_llllS6_dd
                                        ; -- End function
	.set _ZN2at6native12_GLOBAL__N_131pdist_backward_kernel_cuda_implIfNS1_5distsIfE3infEEEvPT_PKS6_S9_S9_llllS6_dd.num_vgpr, 23
	.set _ZN2at6native12_GLOBAL__N_131pdist_backward_kernel_cuda_implIfNS1_5distsIfE3infEEEvPT_PKS6_S9_S9_llllS6_dd.num_agpr, 0
	.set _ZN2at6native12_GLOBAL__N_131pdist_backward_kernel_cuda_implIfNS1_5distsIfE3infEEEvPT_PKS6_S9_S9_llllS6_dd.numbered_sgpr, 24
	.set _ZN2at6native12_GLOBAL__N_131pdist_backward_kernel_cuda_implIfNS1_5distsIfE3infEEEvPT_PKS6_S9_S9_llllS6_dd.num_named_barrier, 0
	.set _ZN2at6native12_GLOBAL__N_131pdist_backward_kernel_cuda_implIfNS1_5distsIfE3infEEEvPT_PKS6_S9_S9_llllS6_dd.private_seg_size, 0
	.set _ZN2at6native12_GLOBAL__N_131pdist_backward_kernel_cuda_implIfNS1_5distsIfE3infEEEvPT_PKS6_S9_S9_llllS6_dd.uses_vcc, 1
	.set _ZN2at6native12_GLOBAL__N_131pdist_backward_kernel_cuda_implIfNS1_5distsIfE3infEEEvPT_PKS6_S9_S9_llllS6_dd.uses_flat_scratch, 0
	.set _ZN2at6native12_GLOBAL__N_131pdist_backward_kernel_cuda_implIfNS1_5distsIfE3infEEEvPT_PKS6_S9_S9_llllS6_dd.has_dyn_sized_stack, 0
	.set _ZN2at6native12_GLOBAL__N_131pdist_backward_kernel_cuda_implIfNS1_5distsIfE3infEEEvPT_PKS6_S9_S9_llllS6_dd.has_recursion, 0
	.set _ZN2at6native12_GLOBAL__N_131pdist_backward_kernel_cuda_implIfNS1_5distsIfE3infEEEvPT_PKS6_S9_S9_llllS6_dd.has_indirect_call, 0
	.section	.AMDGPU.csdata,"",@progbits
; Kernel info:
; codeLenInByte = 1440
; TotalNumSgprs: 26
; NumVgprs: 23
; ScratchSize: 0
; MemoryBound: 0
; FloatMode: 240
; IeeeMode: 1
; LDSByteSize: 0 bytes/workgroup (compile time only)
; SGPRBlocks: 0
; VGPRBlocks: 2
; NumSGPRsForWavesPerEU: 26
; NumVGPRsForWavesPerEU: 23
; Occupancy: 16
; WaveLimiterHint : 0
; COMPUTE_PGM_RSRC2:SCRATCH_EN: 0
; COMPUTE_PGM_RSRC2:USER_SGPR: 2
; COMPUTE_PGM_RSRC2:TRAP_HANDLER: 0
; COMPUTE_PGM_RSRC2:TGID_X_EN: 1
; COMPUTE_PGM_RSRC2:TGID_Y_EN: 1
; COMPUTE_PGM_RSRC2:TGID_Z_EN: 0
; COMPUTE_PGM_RSRC2:TIDIG_COMP_CNT: 1
	.section	.text._ZN2at6native12_GLOBAL__N_131cdist_backward_kernel_cuda_implIdNS1_5distsIdE1pEEEvPT_PKS6_S9_S9_S9_S6_lllllll,"axG",@progbits,_ZN2at6native12_GLOBAL__N_131cdist_backward_kernel_cuda_implIdNS1_5distsIdE1pEEEvPT_PKS6_S9_S9_S9_S6_lllllll,comdat
	.globl	_ZN2at6native12_GLOBAL__N_131cdist_backward_kernel_cuda_implIdNS1_5distsIdE1pEEEvPT_PKS6_S9_S9_S9_S6_lllllll ; -- Begin function _ZN2at6native12_GLOBAL__N_131cdist_backward_kernel_cuda_implIdNS1_5distsIdE1pEEEvPT_PKS6_S9_S9_S9_S6_lllllll
	.p2align	8
	.type	_ZN2at6native12_GLOBAL__N_131cdist_backward_kernel_cuda_implIdNS1_5distsIdE1pEEEvPT_PKS6_S9_S9_S9_S6_lllllll,@function
_ZN2at6native12_GLOBAL__N_131cdist_backward_kernel_cuda_implIdNS1_5distsIdE1pEEEvPT_PKS6_S9_S9_S9_S6_lllllll: ; @_ZN2at6native12_GLOBAL__N_131cdist_backward_kernel_cuda_implIdNS1_5distsIdE1pEEEvPT_PKS6_S9_S9_S9_S6_lllllll
; %bb.0:
	s_clause 0x1
	s_load_b64 s[2:3], s[0:1], 0x70
	s_load_b256 s[20:27], s[0:1], 0x40
	s_and_b32 s4, ttmp7, 0xffff
	v_bfe_u32 v1, v0, 10, 10
	s_lshr_b32 s5, ttmp7, 16
	s_wait_kmcnt 0x0
	s_mul_i32 s2, s2, s4
	s_lshr_b32 s4, s3, 16
	s_add_co_i32 s2, s2, s5
	s_delay_alu instid0(SALU_CYCLE_1) | instskip(SKIP_2) | instid1(VALU_DEP_1)
	v_mad_co_u64_u32 v[6:7], null, s2, s4, v[1:2]
	s_mov_b32 s2, exec_lo
	v_ashrrev_i32_e32 v7, 31, v6
	v_cmpx_gt_i64_e64 s[22:23], v[6:7]
	s_cbranch_execz .LBB30_14
; %bb.1:
	v_and_b32_e32 v0, 0x3ff, v0
	s_and_b32 s33, s3, 0xffff
	s_load_b64 s[22:23], s[0:1], 0x60
	s_delay_alu instid0(VALU_DEP_1) | instskip(NEXT) | instid1(VALU_DEP_1)
	v_mad_co_u64_u32 v[0:1], null, ttmp9, s33, v[0:1]
	v_ashrrev_i32_e32 v1, 31, v0
	s_delay_alu instid0(VALU_DEP_1)
	v_cmp_gt_i64_e32 vcc_lo, s[20:21], v[0:1]
	s_and_b32 exec_lo, exec_lo, vcc_lo
	s_cbranch_execz .LBB30_14
; %bb.2:
	v_or_b32_e32 v3, s25, v7
	v_mov_b32_e32 v2, 0
	s_delay_alu instid0(VALU_DEP_1)
	v_cmp_ne_u64_e32 vcc_lo, 0, v[2:3]
                                        ; implicit-def: $vgpr2_vgpr3
	s_and_saveexec_b32 s2, vcc_lo
	s_wait_alu 0xfffe
	s_xor_b32 s3, exec_lo, s2
	s_cbranch_execz .LBB30_4
; %bb.3:
	s_ashr_i32 s4, s25, 31
	s_mov_b32 s15, 0
	s_wait_alu 0xfffe
	s_mov_b32 s5, s4
	v_ashrrev_i32_e32 v10, 31, v7
	s_wait_alu 0xfffe
	s_add_nc_u64 s[6:7], s[24:25], s[4:5]
	s_delay_alu instid0(SALU_CYCLE_1) | instskip(NEXT) | instid1(VALU_DEP_1)
	s_xor_b64 s[6:7], s[6:7], s[4:5]
	v_add_co_u32 v2, vcc_lo, v6, v10
	s_cvt_f32_u32 s2, s6
	s_cvt_f32_u32 s5, s7
	s_sub_nc_u64 s[10:11], 0, s[6:7]
	v_add_co_ci_u32_e64 v3, null, v7, v10, vcc_lo
	s_wait_alu 0xfffe
	s_fmamk_f32 s2, s5, 0x4f800000, s2
	v_xor_b32_e32 v11, v2, v10
	s_delay_alu instid0(VALU_DEP_2) | instskip(SKIP_2) | instid1(TRANS32_DEP_1)
	v_xor_b32_e32 v12, v3, v10
	s_wait_alu 0xfffe
	v_s_rcp_f32 s2, s2
	s_mul_f32 s2, s2, 0x5f7ffffc
	s_wait_alu 0xfffe
	s_delay_alu instid0(SALU_CYCLE_2) | instskip(SKIP_1) | instid1(SALU_CYCLE_2)
	s_mul_f32 s5, s2, 0x2f800000
	s_wait_alu 0xfffe
	s_trunc_f32 s5, s5
	s_wait_alu 0xfffe
	s_delay_alu instid0(SALU_CYCLE_2) | instskip(SKIP_2) | instid1(SALU_CYCLE_1)
	s_fmamk_f32 s2, s5, 0xcf800000, s2
	s_cvt_u32_f32 s9, s5
	s_wait_alu 0xfffe
	s_cvt_u32_f32 s8, s2
	s_delay_alu instid0(SALU_CYCLE_3) | instskip(NEXT) | instid1(SALU_CYCLE_1)
	s_mul_u64 s[12:13], s[10:11], s[8:9]
	s_mul_hi_u32 s17, s8, s13
	s_mul_i32 s16, s8, s13
	s_mul_hi_u32 s14, s8, s12
	s_mul_i32 s5, s9, s12
	s_add_nc_u64 s[16:17], s[14:15], s[16:17]
	s_mul_hi_u32 s2, s9, s12
	s_mul_hi_u32 s18, s9, s13
	s_wait_alu 0xfffe
	s_add_co_u32 s5, s16, s5
	s_add_co_ci_u32 s14, s17, s2
	s_mul_i32 s12, s9, s13
	s_add_co_ci_u32 s13, s18, 0
	s_delay_alu instid0(SALU_CYCLE_1) | instskip(NEXT) | instid1(SALU_CYCLE_1)
	s_add_nc_u64 s[12:13], s[14:15], s[12:13]
	s_add_co_u32 s8, s8, s12
	s_cselect_b32 s2, -1, 0
	s_wait_alu 0xfffe
	s_cmp_lg_u32 s2, 0
	s_add_co_ci_u32 s9, s9, s13
	s_delay_alu instid0(SALU_CYCLE_1) | instskip(NEXT) | instid1(SALU_CYCLE_1)
	s_mul_u64 s[10:11], s[10:11], s[8:9]
	s_mul_hi_u32 s13, s8, s11
	s_mul_i32 s12, s8, s11
	s_mul_hi_u32 s14, s8, s10
	s_mul_i32 s5, s9, s10
	s_add_nc_u64 s[12:13], s[14:15], s[12:13]
	s_mul_hi_u32 s2, s9, s10
	s_mul_hi_u32 s16, s9, s11
	s_wait_alu 0xfffe
	s_add_co_u32 s5, s12, s5
	s_add_co_ci_u32 s14, s13, s2
	s_mul_i32 s10, s9, s11
	s_add_co_ci_u32 s11, s16, 0
	s_delay_alu instid0(SALU_CYCLE_1) | instskip(NEXT) | instid1(SALU_CYCLE_1)
	s_add_nc_u64 s[10:11], s[14:15], s[10:11]
	s_add_co_u32 s2, s8, s10
	s_cselect_b32 s5, -1, 0
	s_wait_alu 0xfffe
	v_mul_hi_u32 v13, v11, s2
	s_cmp_lg_u32 s5, 0
	v_mad_co_u64_u32 v[4:5], null, v12, s2, 0
	s_add_co_ci_u32 s5, s9, s11
	s_wait_alu 0xfffe
	v_mad_co_u64_u32 v[2:3], null, v11, s5, 0
	v_mad_co_u64_u32 v[8:9], null, v12, s5, 0
	s_delay_alu instid0(VALU_DEP_2) | instskip(SKIP_1) | instid1(VALU_DEP_3)
	v_add_co_u32 v2, vcc_lo, v13, v2
	s_wait_alu 0xfffd
	v_add_co_ci_u32_e64 v3, null, 0, v3, vcc_lo
	s_delay_alu instid0(VALU_DEP_2) | instskip(SKIP_1) | instid1(VALU_DEP_2)
	v_add_co_u32 v2, vcc_lo, v2, v4
	s_wait_alu 0xfffd
	v_add_co_ci_u32_e32 v2, vcc_lo, v3, v5, vcc_lo
	s_wait_alu 0xfffd
	v_add_co_ci_u32_e32 v3, vcc_lo, 0, v9, vcc_lo
	s_delay_alu instid0(VALU_DEP_2) | instskip(SKIP_1) | instid1(VALU_DEP_2)
	v_add_co_u32 v4, vcc_lo, v2, v8
	s_wait_alu 0xfffd
	v_add_co_ci_u32_e64 v5, null, 0, v3, vcc_lo
	s_delay_alu instid0(VALU_DEP_2) | instskip(SKIP_1) | instid1(VALU_DEP_3)
	v_mul_lo_u32 v8, s7, v4
	v_mad_co_u64_u32 v[2:3], null, s6, v4, 0
	v_mul_lo_u32 v9, s6, v5
	s_delay_alu instid0(VALU_DEP_2) | instskip(NEXT) | instid1(VALU_DEP_2)
	v_sub_co_u32 v2, vcc_lo, v11, v2
	v_add3_u32 v3, v3, v9, v8
	v_add_co_u32 v9, s2, v4, 2
	s_wait_alu 0xf1ff
	v_add_co_ci_u32_e64 v11, null, 0, v5, s2
	s_delay_alu instid0(VALU_DEP_3) | instskip(SKIP_3) | instid1(VALU_DEP_3)
	v_sub_nc_u32_e32 v8, v12, v3
	v_sub_co_u32 v13, s2, v2, s6
	s_wait_alu 0xfffd
	v_sub_co_ci_u32_e64 v3, null, v12, v3, vcc_lo
	v_subrev_co_ci_u32_e64 v8, null, s7, v8, vcc_lo
	s_delay_alu instid0(VALU_DEP_3) | instskip(SKIP_1) | instid1(VALU_DEP_2)
	v_cmp_le_u32_e32 vcc_lo, s6, v13
	s_wait_alu 0xf1ff
	v_subrev_co_ci_u32_e64 v8, null, 0, v8, s2
	s_wait_alu 0xfffd
	v_cndmask_b32_e64 v12, 0, -1, vcc_lo
	s_delay_alu instid0(VALU_DEP_2)
	v_cmp_le_u32_e32 vcc_lo, s7, v8
	s_wait_alu 0xfffd
	v_cndmask_b32_e64 v13, 0, -1, vcc_lo
	v_cmp_le_u32_e32 vcc_lo, s6, v2
	s_wait_alu 0xfffd
	v_cndmask_b32_e64 v2, 0, -1, vcc_lo
	;; [unrolled: 3-line block ×3, first 2 shown]
	v_cmp_eq_u32_e32 vcc_lo, s7, v8
	s_wait_alu 0xfffd
	v_cndmask_b32_e32 v8, v13, v12, vcc_lo
	v_add_co_u32 v12, vcc_lo, v4, 1
	s_wait_alu 0xfffd
	v_add_co_ci_u32_e64 v13, null, 0, v5, vcc_lo
	v_cmp_eq_u32_e32 vcc_lo, s7, v3
	s_wait_alu 0xfffd
	v_cndmask_b32_e32 v2, v14, v2, vcc_lo
	v_cmp_ne_u32_e32 vcc_lo, 0, v8
	v_xor_b32_e32 v8, s4, v10
	s_wait_alu 0xfffd
	v_cndmask_b32_e32 v3, v13, v11, vcc_lo
	v_cmp_ne_u32_e64 s2, 0, v2
	v_cndmask_b32_e32 v2, v12, v9, vcc_lo
	s_wait_alu 0xf1ff
	s_delay_alu instid0(VALU_DEP_2) | instskip(NEXT) | instid1(VALU_DEP_2)
	v_cndmask_b32_e64 v3, v5, v3, s2
	v_cndmask_b32_e64 v2, v4, v2, s2
	s_delay_alu instid0(VALU_DEP_2) | instskip(NEXT) | instid1(VALU_DEP_2)
	v_xor_b32_e32 v3, v3, v8
	v_xor_b32_e32 v2, v2, v8
	s_delay_alu instid0(VALU_DEP_1) | instskip(SKIP_1) | instid1(VALU_DEP_3)
	v_sub_co_u32 v2, vcc_lo, v2, v8
	s_wait_alu 0xfffd
	v_sub_co_ci_u32_e64 v3, null, v3, v8, vcc_lo
.LBB30_4:
	s_wait_alu 0xfffe
	s_and_not1_saveexec_b32 s2, s3
	s_cbranch_execz .LBB30_6
; %bb.5:
	v_cvt_f32_u32_e32 v2, s24
	s_sub_co_i32 s3, 0, s24
	s_delay_alu instid0(VALU_DEP_1) | instskip(NEXT) | instid1(TRANS32_DEP_1)
	v_rcp_iflag_f32_e32 v2, v2
	v_mul_f32_e32 v2, 0x4f7ffffe, v2
	s_delay_alu instid0(VALU_DEP_1) | instskip(SKIP_1) | instid1(VALU_DEP_1)
	v_cvt_u32_f32_e32 v2, v2
	s_wait_alu 0xfffe
	v_mul_lo_u32 v3, s3, v2
	s_delay_alu instid0(VALU_DEP_1) | instskip(NEXT) | instid1(VALU_DEP_1)
	v_mul_hi_u32 v3, v2, v3
	v_add_nc_u32_e32 v2, v2, v3
	s_delay_alu instid0(VALU_DEP_1) | instskip(NEXT) | instid1(VALU_DEP_1)
	v_mul_hi_u32 v2, v6, v2
	v_mul_lo_u32 v3, v2, s24
	v_add_nc_u32_e32 v4, 1, v2
	s_delay_alu instid0(VALU_DEP_2) | instskip(NEXT) | instid1(VALU_DEP_1)
	v_sub_nc_u32_e32 v3, v6, v3
	v_subrev_nc_u32_e32 v5, s24, v3
	v_cmp_le_u32_e32 vcc_lo, s24, v3
	s_wait_alu 0xfffd
	s_delay_alu instid0(VALU_DEP_2) | instskip(NEXT) | instid1(VALU_DEP_1)
	v_dual_cndmask_b32 v3, v3, v5 :: v_dual_cndmask_b32 v2, v2, v4
	v_cmp_le_u32_e32 vcc_lo, s24, v3
	s_delay_alu instid0(VALU_DEP_2) | instskip(SKIP_1) | instid1(VALU_DEP_1)
	v_dual_mov_b32 v3, 0 :: v_dual_add_nc_u32 v4, 1, v2
	s_wait_alu 0xfffd
	v_cndmask_b32_e32 v2, v2, v4, vcc_lo
.LBB30_6:
	s_wait_alu 0xfffe
	s_or_b32 exec_lo, exec_lo, s2
	s_load_b512 s[4:19], s[0:1], 0x0
	v_mul_lo_u32 v5, v3, s24
	v_mul_lo_u32 v8, v2, s25
	v_mad_co_u64_u32 v[3:4], null, v2, s24, 0
	s_add_nc_u64 s[2:3], s[0:1], 0x68
	v_add3_u32 v4, v4, v8, v5
	v_sub_co_u32 v15, vcc_lo, v6, v3
	s_wait_alu 0xfffd
	s_delay_alu instid0(VALU_DEP_2) | instskip(SKIP_2) | instid1(VALU_DEP_2)
	v_sub_co_ci_u32_e64 v14, null, v7, v4, vcc_lo
	v_mov_b32_e32 v4, 0
	s_wait_kmcnt 0x0
	v_or_b32_e32 v5, s19, v14
	s_delay_alu instid0(VALU_DEP_1)
	v_cmp_ne_u64_e32 vcc_lo, 0, v[4:5]
                                        ; implicit-def: $vgpr4_vgpr5
	s_and_saveexec_b32 s0, vcc_lo
	s_wait_alu 0xfffe
	s_xor_b32 s1, exec_lo, s0
	s_cbranch_execz .LBB30_8
; %bb.7:
	s_ashr_i32 s24, s19, 31
	s_mov_b32 s39, 0
	s_wait_alu 0xfffe
	s_mov_b32 s25, s24
	v_ashrrev_i32_e32 v12, 31, v14
	s_wait_alu 0xfffe
	s_add_nc_u64 s[28:29], s[18:19], s[24:25]
	s_delay_alu instid0(SALU_CYCLE_1) | instskip(NEXT) | instid1(VALU_DEP_1)
	s_xor_b64 s[28:29], s[28:29], s[24:25]
	v_add_co_u32 v4, vcc_lo, v15, v12
	s_cvt_f32_u32 s0, s28
	s_cvt_f32_u32 s25, s29
	s_sub_nc_u64 s[34:35], 0, s[28:29]
	s_wait_alu 0xfffd
	v_add_co_ci_u32_e64 v5, null, v14, v12, vcc_lo
	s_wait_alu 0xfffe
	s_fmamk_f32 s0, s25, 0x4f800000, s0
	v_xor_b32_e32 v13, v4, v12
	s_delay_alu instid0(VALU_DEP_2) | instskip(SKIP_2) | instid1(TRANS32_DEP_1)
	v_xor_b32_e32 v16, v5, v12
	s_wait_alu 0xfffe
	v_s_rcp_f32 s0, s0
	s_mul_f32 s0, s0, 0x5f7ffffc
	s_wait_alu 0xfffe
	s_delay_alu instid0(SALU_CYCLE_2) | instskip(SKIP_1) | instid1(SALU_CYCLE_2)
	s_mul_f32 s25, s0, 0x2f800000
	s_wait_alu 0xfffe
	s_trunc_f32 s25, s25
	s_wait_alu 0xfffe
	s_delay_alu instid0(SALU_CYCLE_2) | instskip(SKIP_2) | instid1(SALU_CYCLE_1)
	s_fmamk_f32 s0, s25, 0xcf800000, s0
	s_cvt_u32_f32 s31, s25
	s_wait_alu 0xfffe
	s_cvt_u32_f32 s30, s0
	s_delay_alu instid0(SALU_CYCLE_3) | instskip(NEXT) | instid1(SALU_CYCLE_1)
	s_mul_u64 s[36:37], s[34:35], s[30:31]
	s_mul_hi_u32 s41, s30, s37
	s_mul_i32 s40, s30, s37
	s_mul_hi_u32 s38, s30, s36
	s_mul_i32 s25, s31, s36
	s_add_nc_u64 s[40:41], s[38:39], s[40:41]
	s_mul_hi_u32 s0, s31, s36
	s_mul_hi_u32 s42, s31, s37
	s_wait_alu 0xfffe
	s_add_co_u32 s25, s40, s25
	s_add_co_ci_u32 s38, s41, s0
	s_mul_i32 s36, s31, s37
	s_add_co_ci_u32 s37, s42, 0
	s_delay_alu instid0(SALU_CYCLE_1) | instskip(NEXT) | instid1(SALU_CYCLE_1)
	s_add_nc_u64 s[36:37], s[38:39], s[36:37]
	s_add_co_u32 s30, s30, s36
	s_cselect_b32 s0, -1, 0
	s_wait_alu 0xfffe
	s_cmp_lg_u32 s0, 0
	s_add_co_ci_u32 s31, s31, s37
	s_delay_alu instid0(SALU_CYCLE_1) | instskip(NEXT) | instid1(SALU_CYCLE_1)
	s_mul_u64 s[34:35], s[34:35], s[30:31]
	s_mul_hi_u32 s37, s30, s35
	s_mul_i32 s36, s30, s35
	s_mul_hi_u32 s38, s30, s34
	s_mul_i32 s25, s31, s34
	s_add_nc_u64 s[36:37], s[38:39], s[36:37]
	s_mul_hi_u32 s0, s31, s34
	s_mul_hi_u32 s40, s31, s35
	s_wait_alu 0xfffe
	s_add_co_u32 s25, s36, s25
	s_add_co_ci_u32 s38, s37, s0
	s_mul_i32 s34, s31, s35
	s_add_co_ci_u32 s35, s40, 0
	s_delay_alu instid0(SALU_CYCLE_1) | instskip(NEXT) | instid1(SALU_CYCLE_1)
	s_add_nc_u64 s[34:35], s[38:39], s[34:35]
	s_add_co_u32 s0, s30, s34
	s_cselect_b32 s25, -1, 0
	s_wait_alu 0xfffe
	v_mul_hi_u32 v17, v13, s0
	s_cmp_lg_u32 s25, 0
	v_mad_co_u64_u32 v[8:9], null, v16, s0, 0
	s_add_co_ci_u32 s25, s31, s35
	s_wait_alu 0xfffe
	v_mad_co_u64_u32 v[4:5], null, v13, s25, 0
	v_mad_co_u64_u32 v[10:11], null, v16, s25, 0
	s_delay_alu instid0(VALU_DEP_2) | instskip(SKIP_1) | instid1(VALU_DEP_3)
	v_add_co_u32 v4, vcc_lo, v17, v4
	s_wait_alu 0xfffd
	v_add_co_ci_u32_e64 v5, null, 0, v5, vcc_lo
	s_delay_alu instid0(VALU_DEP_2) | instskip(SKIP_1) | instid1(VALU_DEP_2)
	v_add_co_u32 v4, vcc_lo, v4, v8
	s_wait_alu 0xfffd
	v_add_co_ci_u32_e32 v4, vcc_lo, v5, v9, vcc_lo
	s_wait_alu 0xfffd
	v_add_co_ci_u32_e32 v5, vcc_lo, 0, v11, vcc_lo
	s_delay_alu instid0(VALU_DEP_2) | instskip(SKIP_1) | instid1(VALU_DEP_2)
	v_add_co_u32 v8, vcc_lo, v4, v10
	s_wait_alu 0xfffd
	v_add_co_ci_u32_e64 v9, null, 0, v5, vcc_lo
	s_delay_alu instid0(VALU_DEP_2) | instskip(SKIP_1) | instid1(VALU_DEP_3)
	v_mul_lo_u32 v10, s29, v8
	v_mad_co_u64_u32 v[4:5], null, s28, v8, 0
	v_mul_lo_u32 v11, s28, v9
	s_delay_alu instid0(VALU_DEP_2) | instskip(NEXT) | instid1(VALU_DEP_2)
	v_sub_co_u32 v4, vcc_lo, v13, v4
	v_add3_u32 v5, v5, v11, v10
	v_add_co_u32 v11, s0, v8, 2
	s_wait_alu 0xf1ff
	v_add_co_ci_u32_e64 v13, null, 0, v9, s0
	s_delay_alu instid0(VALU_DEP_3) | instskip(SKIP_3) | instid1(VALU_DEP_3)
	v_sub_nc_u32_e32 v10, v16, v5
	v_sub_co_u32 v17, s0, v4, s28
	s_wait_alu 0xfffd
	v_sub_co_ci_u32_e64 v5, null, v16, v5, vcc_lo
	v_subrev_co_ci_u32_e64 v10, null, s29, v10, vcc_lo
	s_delay_alu instid0(VALU_DEP_3) | instskip(SKIP_1) | instid1(VALU_DEP_2)
	v_cmp_le_u32_e32 vcc_lo, s28, v17
	s_wait_alu 0xf1ff
	v_subrev_co_ci_u32_e64 v10, null, 0, v10, s0
	s_wait_alu 0xfffd
	v_cndmask_b32_e64 v16, 0, -1, vcc_lo
	s_delay_alu instid0(VALU_DEP_2)
	v_cmp_le_u32_e32 vcc_lo, s29, v10
	s_wait_alu 0xfffd
	v_cndmask_b32_e64 v17, 0, -1, vcc_lo
	v_cmp_le_u32_e32 vcc_lo, s28, v4
	s_wait_alu 0xfffd
	v_cndmask_b32_e64 v4, 0, -1, vcc_lo
	;; [unrolled: 3-line block ×3, first 2 shown]
	v_cmp_eq_u32_e32 vcc_lo, s29, v10
	s_wait_alu 0xfffd
	v_cndmask_b32_e32 v10, v17, v16, vcc_lo
	v_add_co_u32 v16, vcc_lo, v8, 1
	s_wait_alu 0xfffd
	v_add_co_ci_u32_e64 v17, null, 0, v9, vcc_lo
	v_cmp_eq_u32_e32 vcc_lo, s29, v5
	s_wait_alu 0xfffd
	v_cndmask_b32_e32 v4, v18, v4, vcc_lo
	v_cmp_ne_u32_e32 vcc_lo, 0, v10
	v_xor_b32_e32 v10, s24, v12
	s_wait_alu 0xfffd
	v_cndmask_b32_e32 v5, v17, v13, vcc_lo
	v_cmp_ne_u32_e64 s0, 0, v4
	v_cndmask_b32_e32 v4, v16, v11, vcc_lo
	s_wait_alu 0xf1ff
	s_delay_alu instid0(VALU_DEP_2) | instskip(NEXT) | instid1(VALU_DEP_2)
	v_cndmask_b32_e64 v5, v9, v5, s0
	v_cndmask_b32_e64 v4, v8, v4, s0
	s_delay_alu instid0(VALU_DEP_2) | instskip(NEXT) | instid1(VALU_DEP_2)
	v_xor_b32_e32 v5, v5, v10
	v_xor_b32_e32 v4, v4, v10
	s_delay_alu instid0(VALU_DEP_1) | instskip(SKIP_1) | instid1(VALU_DEP_3)
	v_sub_co_u32 v4, vcc_lo, v4, v10
	s_wait_alu 0xfffd
	v_sub_co_ci_u32_e64 v5, null, v5, v10, vcc_lo
.LBB30_8:
	s_wait_alu 0xfffe
	s_or_saveexec_b32 s0, s1
	s_load_b32 s78, s[2:3], 0x0
	s_xor_b32 exec_lo, exec_lo, s0
	s_cbranch_execz .LBB30_10
; %bb.9:
	v_cvt_f32_u32_e32 v4, s18
	s_sub_co_i32 s1, 0, s18
	s_delay_alu instid0(VALU_DEP_1) | instskip(NEXT) | instid1(TRANS32_DEP_1)
	v_rcp_iflag_f32_e32 v4, v4
	v_mul_f32_e32 v4, 0x4f7ffffe, v4
	s_delay_alu instid0(VALU_DEP_1) | instskip(SKIP_1) | instid1(VALU_DEP_1)
	v_cvt_u32_f32_e32 v4, v4
	s_wait_alu 0xfffe
	v_mul_lo_u32 v5, s1, v4
	s_delay_alu instid0(VALU_DEP_1) | instskip(NEXT) | instid1(VALU_DEP_1)
	v_mul_hi_u32 v5, v4, v5
	v_add_nc_u32_e32 v4, v4, v5
	s_delay_alu instid0(VALU_DEP_1) | instskip(NEXT) | instid1(VALU_DEP_1)
	v_mul_hi_u32 v4, v15, v4
	v_mul_lo_u32 v5, v4, s18
	v_add_nc_u32_e32 v8, 1, v4
	s_delay_alu instid0(VALU_DEP_2) | instskip(NEXT) | instid1(VALU_DEP_1)
	v_sub_nc_u32_e32 v5, v15, v5
	v_subrev_nc_u32_e32 v9, s18, v5
	v_cmp_le_u32_e32 vcc_lo, s18, v5
	s_wait_alu 0xfffd
	s_delay_alu instid0(VALU_DEP_2) | instskip(NEXT) | instid1(VALU_DEP_1)
	v_dual_cndmask_b32 v5, v5, v9 :: v_dual_cndmask_b32 v4, v4, v8
	v_cmp_le_u32_e32 vcc_lo, s18, v5
	s_delay_alu instid0(VALU_DEP_2) | instskip(SKIP_1) | instid1(VALU_DEP_1)
	v_dual_mov_b32 v5, 0 :: v_dual_add_nc_u32 v8, 1, v4
	s_wait_alu 0xfffd
	v_cndmask_b32_e32 v4, v4, v8, vcc_lo
.LBB30_10:
	s_or_b32 exec_lo, exec_lo, s0
	v_lshlrev_b64_e32 v[6:7], 3, v[6:7]
	v_add_f64_e64 v[10:11], s[14:15], -1.0
	s_mov_b32 s24, 0x968915a9
	s_mov_b32 s28, 0x4222de17
	;; [unrolled: 1-line block ×4, first 2 shown]
	v_add_co_u32 v8, vcc_lo, s12, v6
	s_wait_alu 0xfffd
	v_add_co_ci_u32_e64 v9, null, s13, v7, vcc_lo
	s_mov_b32 s12, 0x55555555
	s_mov_b32 s13, 0x3fe55555
	;; [unrolled: 1-line block ×3, first 2 shown]
	global_load_b64 v[8:9], v[8:9], off
	s_mov_b32 s31, 0x3fbe25e4
	s_mov_b32 s34, 0x47e6c9c2
	;; [unrolled: 1-line block ×14, first 2 shown]
	s_wait_alu 0xfffe
	s_mov_b32 s2, s12
	s_mov_b32 s46, 0xd5df274d
	;; [unrolled: 1-line block ×33, first 2 shown]
	v_lshlrev_b64_e32 v[0:1], 3, v[0:1]
	s_wait_loadcnt 0x0
	v_cmp_neq_f64_e32 vcc_lo, 1.0, v[8:9]
	s_wait_alu 0xfffd
	v_cndmask_b32_e32 v11, 0x3ff00000, v11, vcc_lo
	v_cndmask_b32_e32 v10, 0, v10, vcc_lo
	s_delay_alu instid0(VALU_DEP_1) | instskip(SKIP_3) | instid1(VALU_DEP_1)
	v_cmp_neq_f64_e32 vcc_lo, 0, v[10:11]
	s_wait_alu 0xfffd
	v_cndmask_b32_e32 v13, 0x3ff00000, v9, vcc_lo
	v_cndmask_b32_e32 v12, 0, v8, vcc_lo
	v_frexp_mant_f64_e64 v[16:17], |v[12:13]|
	s_delay_alu instid0(VALU_DEP_1) | instskip(SKIP_2) | instid1(VALU_DEP_1)
	v_cmp_gt_f64_e32 vcc_lo, s[12:13], v[16:17]
	s_wait_alu 0xfffd
	v_cndmask_b32_e64 v18, 0, 1, vcc_lo
	v_ldexp_f64 v[16:17], v[16:17], v18
	s_delay_alu instid0(VALU_DEP_1) | instskip(SKIP_1) | instid1(VALU_DEP_2)
	v_add_f64_e32 v[18:19], 1.0, v[16:17]
	v_add_f64_e32 v[24:25], -1.0, v[16:17]
	v_rcp_f64_e32 v[20:21], v[18:19]
	v_add_f64_e32 v[26:27], -1.0, v[18:19]
	s_delay_alu instid0(VALU_DEP_1) | instskip(NEXT) | instid1(TRANS32_DEP_1)
	v_add_f64_e64 v[16:17], v[16:17], -v[26:27]
	v_fma_f64 v[22:23], -v[18:19], v[20:21], 1.0
	s_delay_alu instid0(VALU_DEP_1) | instskip(NEXT) | instid1(VALU_DEP_1)
	v_fma_f64 v[20:21], v[22:23], v[20:21], v[20:21]
	v_fma_f64 v[22:23], -v[18:19], v[20:21], 1.0
	s_delay_alu instid0(VALU_DEP_1) | instskip(NEXT) | instid1(VALU_DEP_1)
	v_fma_f64 v[20:21], v[22:23], v[20:21], v[20:21]
	v_mul_f64_e32 v[22:23], v[24:25], v[20:21]
	s_delay_alu instid0(VALU_DEP_1) | instskip(NEXT) | instid1(VALU_DEP_1)
	v_mul_f64_e32 v[28:29], v[18:19], v[22:23]
	v_fma_f64 v[18:19], v[22:23], v[18:19], -v[28:29]
	s_delay_alu instid0(VALU_DEP_1) | instskip(NEXT) | instid1(VALU_DEP_1)
	v_fma_f64 v[16:17], v[22:23], v[16:17], v[18:19]
	v_add_f64_e32 v[18:19], v[28:29], v[16:17]
	s_delay_alu instid0(VALU_DEP_1) | instskip(SKIP_1) | instid1(VALU_DEP_2)
	v_add_f64_e64 v[26:27], v[24:25], -v[18:19]
	v_add_f64_e64 v[28:29], v[18:19], -v[28:29]
	;; [unrolled: 1-line block ×3, first 2 shown]
	s_delay_alu instid0(VALU_DEP_2) | instskip(NEXT) | instid1(VALU_DEP_2)
	v_add_f64_e64 v[16:17], v[28:29], -v[16:17]
	v_add_f64_e64 v[18:19], v[24:25], -v[18:19]
	s_delay_alu instid0(VALU_DEP_1) | instskip(NEXT) | instid1(VALU_DEP_1)
	v_add_f64_e32 v[16:17], v[16:17], v[18:19]
	v_add_f64_e32 v[16:17], v[26:27], v[16:17]
	s_delay_alu instid0(VALU_DEP_1) | instskip(NEXT) | instid1(VALU_DEP_1)
	v_mul_f64_e32 v[16:17], v[20:21], v[16:17]
	v_add_f64_e32 v[18:19], v[22:23], v[16:17]
	s_delay_alu instid0(VALU_DEP_1) | instskip(SKIP_1) | instid1(VALU_DEP_2)
	v_add_f64_e64 v[20:21], v[18:19], -v[22:23]
	v_mul_f64_e32 v[22:23], v[18:19], v[18:19]
	v_add_f64_e64 v[16:17], v[16:17], -v[20:21]
	s_delay_alu instid0(VALU_DEP_2) | instskip(NEXT) | instid1(VALU_DEP_2)
	v_fma_f64 v[20:21], v[18:19], v[18:19], -v[22:23]
	v_add_f64_e32 v[24:25], v[16:17], v[16:17]
	s_delay_alu instid0(VALU_DEP_1) | instskip(NEXT) | instid1(VALU_DEP_1)
	v_fma_f64 v[20:21], v[18:19], v[24:25], v[20:21]
	v_add_f64_e32 v[24:25], v[22:23], v[20:21]
	s_delay_alu instid0(VALU_DEP_1) | instskip(SKIP_2) | instid1(VALU_DEP_3)
	v_fma_f64 v[26:27], v[24:25], s[28:29], s[24:25]
	v_add_f64_e64 v[22:23], v[24:25], -v[22:23]
	v_mul_f64_e32 v[32:33], v[18:19], v[24:25]
	v_fma_f64 v[26:27], v[24:25], v[26:27], s[30:31]
	s_delay_alu instid0(VALU_DEP_3) | instskip(NEXT) | instid1(VALU_DEP_2)
	v_add_f64_e64 v[20:21], v[20:21], -v[22:23]
	v_fma_f64 v[26:27], v[24:25], v[26:27], s[34:35]
	s_delay_alu instid0(VALU_DEP_1) | instskip(NEXT) | instid1(VALU_DEP_1)
	v_fma_f64 v[26:27], v[24:25], v[26:27], s[36:37]
	v_fma_f64 v[26:27], v[24:25], v[26:27], s[38:39]
	s_delay_alu instid0(VALU_DEP_1) | instskip(NEXT) | instid1(VALU_DEP_1)
	v_fma_f64 v[26:27], v[24:25], v[26:27], s[40:41]
	;; [unrolled: 3-line block ×3, first 2 shown]
	v_mul_f64_e32 v[28:29], v[24:25], v[26:27]
	s_delay_alu instid0(VALU_DEP_1) | instskip(NEXT) | instid1(VALU_DEP_1)
	v_fma_f64 v[22:23], v[24:25], v[26:27], -v[28:29]
	v_fma_f64 v[22:23], v[20:21], v[26:27], v[22:23]
	s_delay_alu instid0(VALU_DEP_1) | instskip(NEXT) | instid1(VALU_DEP_1)
	v_add_f64_e32 v[26:27], v[28:29], v[22:23]
	v_add_f64_e32 v[30:31], s[12:13], v[26:27]
	v_add_f64_e64 v[28:29], v[26:27], -v[28:29]
	s_wait_alu 0xfffe
	s_delay_alu instid0(VALU_DEP_2) | instskip(NEXT) | instid1(VALU_DEP_2)
	v_add_f64_e32 v[34:35], s[2:3], v[30:31]
	v_add_f64_e64 v[22:23], v[22:23], -v[28:29]
	v_fma_f64 v[28:29], v[24:25], v[18:19], -v[32:33]
	s_delay_alu instid0(VALU_DEP_3) | instskip(NEXT) | instid1(VALU_DEP_3)
	v_add_f64_e64 v[26:27], v[26:27], -v[34:35]
	v_add_f64_e32 v[22:23], s[46:47], v[22:23]
	s_delay_alu instid0(VALU_DEP_3) | instskip(SKIP_1) | instid1(VALU_DEP_3)
	v_fma_f64 v[24:25], v[24:25], v[16:17], v[28:29]
	v_ldexp_f64 v[16:17], v[16:17], 1
	v_add_f64_e32 v[22:23], v[22:23], v[26:27]
	s_delay_alu instid0(VALU_DEP_3) | instskip(SKIP_1) | instid1(VALU_DEP_3)
	v_fma_f64 v[20:21], v[20:21], v[18:19], v[24:25]
	v_ldexp_f64 v[18:19], v[18:19], 1
	v_add_f64_e32 v[24:25], v[30:31], v[22:23]
	s_delay_alu instid0(VALU_DEP_3) | instskip(NEXT) | instid1(VALU_DEP_2)
	v_add_f64_e32 v[26:27], v[32:33], v[20:21]
	v_add_f64_e64 v[28:29], v[30:31], -v[24:25]
	s_delay_alu instid0(VALU_DEP_2) | instskip(SKIP_1) | instid1(VALU_DEP_3)
	v_mul_f64_e32 v[30:31], v[26:27], v[24:25]
	v_add_f64_e64 v[32:33], v[26:27], -v[32:33]
	v_add_f64_e32 v[22:23], v[22:23], v[28:29]
	s_delay_alu instid0(VALU_DEP_3) | instskip(NEXT) | instid1(VALU_DEP_3)
	v_fma_f64 v[28:29], v[26:27], v[24:25], -v[30:31]
	v_add_f64_e64 v[20:21], v[20:21], -v[32:33]
	s_delay_alu instid0(VALU_DEP_2) | instskip(NEXT) | instid1(VALU_DEP_1)
	v_fma_f64 v[22:23], v[26:27], v[22:23], v[28:29]
	v_fma_f64 v[20:21], v[20:21], v[24:25], v[22:23]
	v_frexp_exp_i32_f64_e32 v24, v[12:13]
	s_delay_alu instid0(VALU_DEP_2) | instskip(NEXT) | instid1(VALU_DEP_2)
	v_add_f64_e32 v[22:23], v[30:31], v[20:21]
	v_subrev_co_ci_u32_e64 v24, null, 0, v24, vcc_lo
	s_delay_alu instid0(VALU_DEP_1) | instskip(NEXT) | instid1(VALU_DEP_3)
	v_cvt_f64_i32_e32 v[24:25], v24
	v_add_f64_e32 v[26:27], v[18:19], v[22:23]
	v_add_f64_e64 v[28:29], v[22:23], -v[30:31]
	s_delay_alu instid0(VALU_DEP_3) | instskip(NEXT) | instid1(VALU_DEP_3)
	v_mul_f64_e32 v[30:31], s[48:49], v[24:25]
	v_add_f64_e64 v[18:19], v[26:27], -v[18:19]
	s_delay_alu instid0(VALU_DEP_3) | instskip(NEXT) | instid1(VALU_DEP_3)
	v_add_f64_e64 v[20:21], v[20:21], -v[28:29]
	v_fma_f64 v[28:29], v[24:25], s[48:49], -v[30:31]
	s_delay_alu instid0(VALU_DEP_3) | instskip(NEXT) | instid1(VALU_DEP_3)
	v_add_f64_e64 v[18:19], v[22:23], -v[18:19]
	v_add_f64_e32 v[16:17], v[16:17], v[20:21]
	s_delay_alu instid0(VALU_DEP_3) | instskip(NEXT) | instid1(VALU_DEP_2)
	v_fma_f64 v[20:21], v[24:25], s[50:51], v[28:29]
	v_add_f64_e32 v[16:17], v[16:17], v[18:19]
	s_delay_alu instid0(VALU_DEP_2) | instskip(NEXT) | instid1(VALU_DEP_2)
	v_add_f64_e32 v[18:19], v[30:31], v[20:21]
	v_add_f64_e32 v[22:23], v[26:27], v[16:17]
	s_delay_alu instid0(VALU_DEP_2) | instskip(NEXT) | instid1(VALU_DEP_2)
	v_add_f64_e64 v[30:31], v[18:19], -v[30:31]
	v_add_f64_e32 v[24:25], v[18:19], v[22:23]
	v_add_f64_e64 v[26:27], v[22:23], -v[26:27]
	s_delay_alu instid0(VALU_DEP_3) | instskip(NEXT) | instid1(VALU_DEP_3)
	v_add_f64_e64 v[20:21], v[20:21], -v[30:31]
	v_add_f64_e64 v[28:29], v[24:25], -v[18:19]
	s_delay_alu instid0(VALU_DEP_3) | instskip(NEXT) | instid1(VALU_DEP_2)
	v_add_f64_e64 v[16:17], v[16:17], -v[26:27]
	v_add_f64_e64 v[32:33], v[24:25], -v[28:29]
	;; [unrolled: 1-line block ×3, first 2 shown]
	s_delay_alu instid0(VALU_DEP_3) | instskip(NEXT) | instid1(VALU_DEP_3)
	v_add_f64_e32 v[26:27], v[20:21], v[16:17]
	v_add_f64_e64 v[18:19], v[18:19], -v[32:33]
	s_delay_alu instid0(VALU_DEP_1) | instskip(NEXT) | instid1(VALU_DEP_3)
	v_add_f64_e32 v[18:19], v[22:23], v[18:19]
	v_add_f64_e64 v[22:23], v[26:27], -v[20:21]
	s_delay_alu instid0(VALU_DEP_2) | instskip(NEXT) | instid1(VALU_DEP_2)
	v_add_f64_e32 v[18:19], v[26:27], v[18:19]
	v_add_f64_e64 v[26:27], v[26:27], -v[22:23]
	v_add_f64_e64 v[16:17], v[16:17], -v[22:23]
	s_delay_alu instid0(VALU_DEP_3) | instskip(NEXT) | instid1(VALU_DEP_3)
	v_add_f64_e32 v[28:29], v[24:25], v[18:19]
	v_add_f64_e64 v[20:21], v[20:21], -v[26:27]
	s_delay_alu instid0(VALU_DEP_2) | instskip(NEXT) | instid1(VALU_DEP_2)
	v_add_f64_e64 v[22:23], v[28:29], -v[24:25]
	v_add_f64_e32 v[16:17], v[16:17], v[20:21]
	s_delay_alu instid0(VALU_DEP_2) | instskip(NEXT) | instid1(VALU_DEP_1)
	v_add_f64_e64 v[18:19], v[18:19], -v[22:23]
	v_add_f64_e32 v[16:17], v[16:17], v[18:19]
	s_delay_alu instid0(VALU_DEP_1) | instskip(NEXT) | instid1(VALU_DEP_1)
	v_add_f64_e32 v[18:19], v[28:29], v[16:17]
	v_add_f64_e64 v[20:21], v[18:19], -v[28:29]
	v_mul_f64_e32 v[22:23], v[10:11], v[18:19]
	s_delay_alu instid0(VALU_DEP_2) | instskip(NEXT) | instid1(VALU_DEP_2)
	v_add_f64_e64 v[16:17], v[16:17], -v[20:21]
	v_fma_f64 v[18:19], v[10:11], v[18:19], -v[22:23]
	v_cmp_class_f64_e64 vcc_lo, v[22:23], 0x204
	s_delay_alu instid0(VALU_DEP_2) | instskip(NEXT) | instid1(VALU_DEP_1)
	v_fma_f64 v[16:17], v[10:11], v[16:17], v[18:19]
	v_add_f64_e32 v[18:19], v[22:23], v[16:17]
	s_wait_alu 0xfffd
	s_delay_alu instid0(VALU_DEP_1) | instskip(SKIP_3) | instid1(VALU_DEP_3)
	v_dual_cndmask_b32 v21, v19, v23 :: v_dual_cndmask_b32 v20, v18, v22
	v_add_co_u32 v6, vcc_lo, s6, v6
	s_wait_alu 0xfffd
	v_add_co_ci_u32_e64 v7, null, s7, v7, vcc_lo
	v_mul_f64_e32 v[24:25], s[52:53], v[20:21]
	v_add_f64_e64 v[18:19], v[18:19], -v[22:23]
	v_cmp_nlt_f64_e64 s0, 0x40900000, v[20:21]
	global_load_b64 v[6:7], v[6:7], off
	v_cmp_neq_f64_e64 vcc_lo, 0x7ff00000, |v[20:21]|
	v_cmp_ngt_f64_e64 s1, 0xc090cc00, v[20:21]
	s_lshl_b64 s[6:7], s[20:21], 3
	v_rndne_f64_e32 v[24:25], v[24:25]
	v_add_f64_e64 v[16:17], v[16:17], -v[18:19]
	v_trunc_f64_e32 v[18:19], v[10:11]
	s_delay_alu instid0(VALU_DEP_3) | instskip(SKIP_2) | instid1(VALU_DEP_4)
	v_fma_f64 v[26:27], v[24:25], s[54:55], v[20:21]
	v_cvt_i32_f64_e32 v30, v[24:25]
	s_wait_alu 0xfffd
	v_dual_cndmask_b32 v17, 0, v17 :: v_dual_cndmask_b32 v16, 0, v16
	s_and_b32 vcc_lo, s1, s0
	v_cmp_lt_f64_e64 s2, |v[12:13]|, 1.0
	s_delay_alu instid0(VALU_DEP_4) | instskip(NEXT) | instid1(VALU_DEP_1)
	v_fma_f64 v[26:27], v[24:25], s[56:57], v[26:27]
	v_fma_f64 v[28:29], v[26:27], s[60:61], s[58:59]
	s_delay_alu instid0(VALU_DEP_1) | instskip(NEXT) | instid1(VALU_DEP_1)
	v_fma_f64 v[28:29], v[26:27], v[28:29], s[62:63]
	v_fma_f64 v[28:29], v[26:27], v[28:29], s[64:65]
	s_delay_alu instid0(VALU_DEP_1) | instskip(NEXT) | instid1(VALU_DEP_1)
	;; [unrolled: 3-line block ×5, first 2 shown]
	v_fma_f64 v[28:29], v[26:27], v[28:29], 1.0
	v_fma_f64 v[24:25], v[26:27], v[28:29], 1.0
	v_mul_lo_u32 v28, v5, s18
	v_mul_lo_u32 v26, v5, s20
	;; [unrolled: 1-line block ×3, first 2 shown]
	s_delay_alu instid0(VALU_DEP_4) | instskip(SKIP_2) | instid1(VALU_DEP_3)
	v_ldexp_f64 v[22:23], v[24:25], v30
	v_mul_f64_e32 v[24:25], 0.5, v[10:11]
	v_mul_lo_u32 v30, v4, s19
	v_cndmask_b32_e64 v23, 0x7ff00000, v23, s0
	s_wait_alu 0xfffe
	s_delay_alu instid0(VALU_DEP_4) | instskip(NEXT) | instid1(VALU_DEP_4)
	v_cndmask_b32_e32 v22, 0, v22, vcc_lo
	v_trunc_f64_e32 v[20:21], v[24:25]
	v_cmp_eq_f64_e32 vcc_lo, v[18:19], v[10:11]
	v_cndmask_b32_e64 v23, 0, v23, s1
	s_delay_alu instid0(VALU_DEP_1)
	v_fma_f64 v[16:17], v[22:23], v[16:17], v[22:23]
	v_cmp_class_f64_e64 s1, v[22:23], 0x204
	v_cmp_neq_f64_e64 s0, v[20:21], v[24:25]
	v_ashrrev_i32_e32 v24, 31, v2
	v_mul_lo_u32 v25, v2, s27
	s_wait_alu 0xf1ff
	s_delay_alu instid0(VALU_DEP_4) | instskip(SKIP_3) | instid1(VALU_DEP_3)
	v_cndmask_b32_e64 v20, v16, v22, s1
	v_cndmask_b32_e64 v16, v17, v23, s1
	v_cmp_neq_f64_e64 s1, v[10:11], |v[10:11]|
	s_wait_alu 0xfffd
	v_cndmask_b32_e32 v23, 0, v20, vcc_lo
	s_and_b32 s0, vcc_lo, s0
	s_wait_alu 0xfffe
	v_cndmask_b32_e64 v18, 0x3ff00000, v13, s0
	v_cndmask_b32_e64 v32, 0, v13, s0
	v_cmp_class_f64_e64 s0, v[12:13], 0x204
	s_delay_alu instid0(VALU_DEP_3)
	v_bfi_b32 v21, 0x7fffffff, v16, v18
	v_mad_co_u64_u32 v[18:19], null, v4, s20, 0
	v_mad_co_u64_u32 v[16:17], null, v2, s26, 0
	s_xor_b32 s1, s1, s2
	v_cndmask_b32_e32 v22, 0x7ff80000, v21, vcc_lo
	s_wait_alu 0xfffe
	v_cndmask_b32_e64 v29, 0x7ff00000, 0, s1
	v_cmp_gt_f64_e64 s1, 0, v[10:11]
	v_cmp_gt_f64_e32 vcc_lo, 0, v[12:13]
	v_add3_u32 v19, v19, v27, v26
	s_wait_alu 0xf1ff
	s_delay_alu instid0(VALU_DEP_3)
	v_cndmask_b32_e64 v31, 0x7ff00000, 0, s1
	v_cmp_neq_f64_e64 s1, |v[12:13]|, 1.0
	s_wait_alu 0xfffd
	v_dual_cndmask_b32 v33, v20, v23 :: v_dual_cndmask_b32 v22, v21, v22
	v_cmp_class_f64_e64 vcc_lo, v[10:11], 0x204
	v_mad_co_u64_u32 v[20:21], null, v4, s18, 0
	v_mul_lo_u32 v23, s20, v3
	v_bfi_b32 v31, 0x7fffffff, v31, v32
	v_mul_lo_u32 v32, v24, s26
	v_mul_lo_u32 v24, v24, s22
	v_add3_u32 v3, v21, v30, v28
	s_delay_alu instid0(VALU_DEP_3) | instskip(SKIP_1) | instid1(VALU_DEP_2)
	v_add3_u32 v17, v17, v25, v32
	v_mul_lo_u32 v25, v2, s23
	v_lshlrev_b64_e32 v[16:17], 3, v[16:17]
	s_wait_alu 0xf1ff
	v_cndmask_b32_e64 v29, 0x3ff00000, v29, s1
	v_sub_co_u32 v20, s1, v15, v20
	s_wait_alu 0xf1ff
	v_sub_co_ci_u32_e64 v21, null, v14, v3, s1
	s_wait_alu 0xfffd
	v_cndmask_b32_e32 v29, v22, v29, vcc_lo
	v_mad_co_u64_u32 v[3:4], null, v20, s16, v[4:5]
	v_mul_lo_u32 v5, v20, s17
	v_mul_lo_u32 v26, v21, s16
	v_mov_b32_e32 v22, 0
	v_lshlrev_b64_e32 v[14:15], 3, v[18:19]
	v_mul_lo_u32 v27, v3, s21
	v_mad_co_u64_u32 v[18:19], null, v3, s20, 0
	v_add3_u32 v4, v26, v4, v5
	v_cndmask_b32_e64 v26, v29, v31, s0
	s_or_b32 s0, s0, vcc_lo
	v_cmp_o_f64_e32 vcc_lo, v[12:13], v[10:11]
	s_wait_alu 0xfffe
	v_cndmask_b32_e64 v28, v33, 0, s0
	v_cmp_neq_f64_e64 s0, 0, v[8:9]
	v_add_f64_e64 v[8:9], s[14:15], -2.0
	v_mad_co_u64_u32 v[12:13], null, v2, s22, 0
	v_add_co_u32 v3, s1, s8, v16
	s_wait_alu 0xf1ff
	v_add_co_ci_u32_e64 v16, null, s9, v17, s1
	v_mul_lo_u32 v17, v4, s20
	s_delay_alu instid0(VALU_DEP_3) | instskip(SKIP_1) | instid1(VALU_DEP_3)
	v_add_co_u32 v5, s1, v3, v14
	s_wait_alu 0xf1ff
	v_add_co_ci_u32_e64 v16, null, v16, v15, s1
	v_ashrrev_i64 v[14:15], 29, v[22:23]
	v_add3_u32 v13, v13, v25, v24
	v_mul_lo_u32 v2, v21, s20
	v_mul_lo_u32 v22, v20, s21
	v_mad_co_u64_u32 v[20:21], null, v20, s20, 0
	v_add_co_u32 v3, s1, v5, s6
	v_lshlrev_b64_e32 v[12:13], 3, v[12:13]
	v_add3_u32 v19, v19, v27, v17
	s_wait_alu 0xf1ff
	v_add_co_ci_u32_e64 v4, null, s7, v16, s1
	v_add_co_u32 v10, s1, v5, v0
	v_add3_u32 v21, v21, v22, v2
	s_wait_alu 0xf1ff
	v_add_co_ci_u32_e64 v11, null, v16, v1, s1
	v_add_co_u32 v17, s1, s4, v14
	s_wait_alu 0xf1ff
	v_add_co_ci_u32_e64 v23, null, s5, v15, s1
	v_lshlrev_b64_e32 v[14:15], 3, v[18:19]
	v_add_co_u32 v18, s1, s10, v12
	s_wait_alu 0xf1ff
	v_add_co_ci_u32_e64 v19, null, s11, v13, s1
	v_lshlrev_b64_e32 v[12:13], 3, v[20:21]
	s_delay_alu instid0(VALU_DEP_4)
	v_add_co_u32 v2, s1, v17, v14
	s_wait_alu 0xf1ff
	v_add_co_ci_u32_e64 v17, null, v23, v15, s1
	s_wait_kmcnt 0x0
	s_mul_i32 s4, s78, s33
	v_add_co_u32 v18, s1, v18, v12
	s_wait_alu 0xf1ff
	v_add_co_ci_u32_e64 v19, null, v19, v13, s1
	s_wait_alu 0xfffd
	v_cndmask_b32_e32 v12, 0, v28, vcc_lo
	v_cndmask_b32_e32 v13, 0x7ff80000, v26, vcc_lo
	s_wait_alu 0xfffe
	s_ashr_i32 s5, s4, 31
	s_mov_b32 s6, 0
	s_wait_alu 0xfffe
	s_lshl_b64 s[4:5], s[4:5], 3
	s_branch .LBB30_12
.LBB30_11:                              ;   in Loop: Header=BB30_12 Depth=1
	s_wait_alu 0xfffe
	s_or_b32 exec_lo, exec_lo, s7
	v_add_co_u32 v10, vcc_lo, v10, s4
	s_wait_alu 0xfffd
	v_add_co_ci_u32_e64 v11, null, s5, v11, vcc_lo
	v_add_co_u32 v20, vcc_lo, v2, v0
	s_wait_alu 0xfffd
	v_add_co_ci_u32_e64 v21, null, v17, v1, vcc_lo
	s_delay_alu instid0(VALU_DEP_3)
	v_cmp_ge_u64_e32 vcc_lo, v[10:11], v[3:4]
	v_add_co_u32 v0, s1, v0, s4
	s_wait_alu 0xf1ff
	v_add_co_ci_u32_e64 v1, null, s5, v1, s1
	global_store_b64 v[20:21], v[14:15], off
	s_or_b32 s6, vcc_lo, s6
	s_wait_alu 0xfffe
	s_and_not1_b32 exec_lo, exec_lo, s6
	s_cbranch_execz .LBB30_14
.LBB30_12:                              ; =>This Inner Loop Header: Depth=1
	v_mov_b32_e32 v14, 0
	v_mov_b32_e32 v15, 0
	s_and_saveexec_b32 s7, s0
	s_cbranch_execz .LBB30_11
; %bb.13:                               ;   in Loop: Header=BB30_12 Depth=1
	v_add_co_u32 v14, vcc_lo, v5, v0
	s_wait_alu 0xfffd
	v_add_co_ci_u32_e64 v15, null, v16, v1, vcc_lo
	v_add_co_u32 v20, vcc_lo, v18, v0
	s_wait_alu 0xfffd
	v_add_co_ci_u32_e64 v21, null, v19, v1, vcc_lo
	global_load_b64 v[14:15], v[14:15], off
	global_load_b64 v[20:21], v[20:21], off
	s_mov_b32 s2, s12
	s_mov_b32 s54, s48
	;; [unrolled: 1-line block ×3, first 2 shown]
	s_wait_loadcnt 0x0
	v_add_f64_e64 v[14:15], v[14:15], -v[20:21]
	s_delay_alu instid0(VALU_DEP_1) | instskip(SKIP_3) | instid1(VALU_DEP_1)
	v_cmp_neq_f64_e64 vcc_lo, |v[14:15]|, 1.0
	s_wait_alu 0xfffd
	v_cndmask_b32_e32 v21, 0x3ff00000, v9, vcc_lo
	v_cndmask_b32_e32 v20, 0, v8, vcc_lo
	v_cmp_neq_f64_e32 vcc_lo, 0, v[20:21]
	s_wait_alu 0xfffd
	v_cndmask_b32_e32 v23, 0x3ff00000, v15, vcc_lo
	v_cndmask_b32_e32 v22, 0, v14, vcc_lo
	s_delay_alu instid0(VALU_DEP_1) | instskip(NEXT) | instid1(VALU_DEP_1)
	v_frexp_mant_f64_e64 v[24:25], |v[22:23]|
	v_cmp_gt_f64_e32 vcc_lo, s[12:13], v[24:25]
	s_wait_alu 0xfffd
	v_cndmask_b32_e64 v26, 0, 1, vcc_lo
	s_delay_alu instid0(VALU_DEP_1) | instskip(NEXT) | instid1(VALU_DEP_1)
	v_ldexp_f64 v[24:25], v[24:25], v26
	v_add_f64_e32 v[26:27], 1.0, v[24:25]
	v_add_f64_e32 v[32:33], -1.0, v[24:25]
	s_delay_alu instid0(VALU_DEP_2) | instskip(SKIP_1) | instid1(VALU_DEP_1)
	v_rcp_f64_e32 v[28:29], v[26:27]
	v_add_f64_e32 v[34:35], -1.0, v[26:27]
	v_add_f64_e64 v[24:25], v[24:25], -v[34:35]
	s_delay_alu instid0(TRANS32_DEP_1) | instskip(NEXT) | instid1(VALU_DEP_1)
	v_fma_f64 v[30:31], -v[26:27], v[28:29], 1.0
	v_fma_f64 v[28:29], v[30:31], v[28:29], v[28:29]
	s_delay_alu instid0(VALU_DEP_1) | instskip(NEXT) | instid1(VALU_DEP_1)
	v_fma_f64 v[30:31], -v[26:27], v[28:29], 1.0
	v_fma_f64 v[28:29], v[30:31], v[28:29], v[28:29]
	s_delay_alu instid0(VALU_DEP_1) | instskip(NEXT) | instid1(VALU_DEP_1)
	v_mul_f64_e32 v[30:31], v[32:33], v[28:29]
	v_mul_f64_e32 v[36:37], v[26:27], v[30:31]
	s_delay_alu instid0(VALU_DEP_1) | instskip(NEXT) | instid1(VALU_DEP_1)
	v_fma_f64 v[26:27], v[30:31], v[26:27], -v[36:37]
	v_fma_f64 v[24:25], v[30:31], v[24:25], v[26:27]
	s_delay_alu instid0(VALU_DEP_1) | instskip(NEXT) | instid1(VALU_DEP_1)
	v_add_f64_e32 v[26:27], v[36:37], v[24:25]
	v_add_f64_e64 v[34:35], v[32:33], -v[26:27]
	v_add_f64_e64 v[36:37], v[26:27], -v[36:37]
	s_delay_alu instid0(VALU_DEP_2) | instskip(NEXT) | instid1(VALU_DEP_2)
	v_add_f64_e64 v[32:33], v[32:33], -v[34:35]
	v_add_f64_e64 v[24:25], v[36:37], -v[24:25]
	s_delay_alu instid0(VALU_DEP_2) | instskip(NEXT) | instid1(VALU_DEP_1)
	v_add_f64_e64 v[26:27], v[32:33], -v[26:27]
	v_add_f64_e32 v[24:25], v[24:25], v[26:27]
	s_delay_alu instid0(VALU_DEP_1) | instskip(NEXT) | instid1(VALU_DEP_1)
	v_add_f64_e32 v[24:25], v[34:35], v[24:25]
	v_mul_f64_e32 v[24:25], v[28:29], v[24:25]
	s_delay_alu instid0(VALU_DEP_1) | instskip(NEXT) | instid1(VALU_DEP_1)
	v_add_f64_e32 v[26:27], v[30:31], v[24:25]
	v_add_f64_e64 v[28:29], v[26:27], -v[30:31]
	v_mul_f64_e32 v[30:31], v[26:27], v[26:27]
	s_delay_alu instid0(VALU_DEP_2) | instskip(NEXT) | instid1(VALU_DEP_2)
	v_add_f64_e64 v[24:25], v[24:25], -v[28:29]
	v_fma_f64 v[28:29], v[26:27], v[26:27], -v[30:31]
	s_delay_alu instid0(VALU_DEP_2) | instskip(NEXT) | instid1(VALU_DEP_1)
	v_add_f64_e32 v[32:33], v[24:25], v[24:25]
	v_fma_f64 v[28:29], v[26:27], v[32:33], v[28:29]
	s_delay_alu instid0(VALU_DEP_1) | instskip(NEXT) | instid1(VALU_DEP_1)
	v_add_f64_e32 v[32:33], v[30:31], v[28:29]
	v_fma_f64 v[34:35], v[32:33], s[28:29], s[24:25]
	v_add_f64_e64 v[30:31], v[32:33], -v[30:31]
	v_mul_f64_e32 v[40:41], v[26:27], v[32:33]
	s_delay_alu instid0(VALU_DEP_3) | instskip(NEXT) | instid1(VALU_DEP_3)
	v_fma_f64 v[34:35], v[32:33], v[34:35], s[30:31]
	v_add_f64_e64 v[28:29], v[28:29], -v[30:31]
	s_delay_alu instid0(VALU_DEP_2) | instskip(NEXT) | instid1(VALU_DEP_1)
	v_fma_f64 v[34:35], v[32:33], v[34:35], s[34:35]
	v_fma_f64 v[34:35], v[32:33], v[34:35], s[36:37]
	s_delay_alu instid0(VALU_DEP_1) | instskip(NEXT) | instid1(VALU_DEP_1)
	v_fma_f64 v[34:35], v[32:33], v[34:35], s[38:39]
	v_fma_f64 v[34:35], v[32:33], v[34:35], s[40:41]
	s_delay_alu instid0(VALU_DEP_1) | instskip(NEXT) | instid1(VALU_DEP_1)
	;; [unrolled: 3-line block ×3, first 2 shown]
	v_mul_f64_e32 v[36:37], v[32:33], v[34:35]
	v_fma_f64 v[30:31], v[32:33], v[34:35], -v[36:37]
	s_delay_alu instid0(VALU_DEP_1) | instskip(NEXT) | instid1(VALU_DEP_1)
	v_fma_f64 v[30:31], v[28:29], v[34:35], v[30:31]
	v_add_f64_e32 v[34:35], v[36:37], v[30:31]
	s_delay_alu instid0(VALU_DEP_1) | instskip(SKIP_2) | instid1(VALU_DEP_2)
	v_add_f64_e32 v[38:39], s[12:13], v[34:35]
	v_add_f64_e64 v[36:37], v[34:35], -v[36:37]
	s_wait_alu 0xfffe
	v_add_f64_e32 v[42:43], s[2:3], v[38:39]
	s_delay_alu instid0(VALU_DEP_2) | instskip(SKIP_1) | instid1(VALU_DEP_3)
	v_add_f64_e64 v[30:31], v[30:31], -v[36:37]
	v_fma_f64 v[36:37], v[32:33], v[26:27], -v[40:41]
	v_add_f64_e64 v[34:35], v[34:35], -v[42:43]
	s_delay_alu instid0(VALU_DEP_3) | instskip(NEXT) | instid1(VALU_DEP_3)
	v_add_f64_e32 v[30:31], s[46:47], v[30:31]
	v_fma_f64 v[32:33], v[32:33], v[24:25], v[36:37]
	v_ldexp_f64 v[24:25], v[24:25], 1
	s_delay_alu instid0(VALU_DEP_3) | instskip(NEXT) | instid1(VALU_DEP_3)
	v_add_f64_e32 v[30:31], v[30:31], v[34:35]
	v_fma_f64 v[28:29], v[28:29], v[26:27], v[32:33]
	v_ldexp_f64 v[26:27], v[26:27], 1
	s_delay_alu instid0(VALU_DEP_3) | instskip(NEXT) | instid1(VALU_DEP_3)
	v_add_f64_e32 v[32:33], v[38:39], v[30:31]
	v_add_f64_e32 v[34:35], v[40:41], v[28:29]
	s_delay_alu instid0(VALU_DEP_2) | instskip(NEXT) | instid1(VALU_DEP_2)
	v_add_f64_e64 v[36:37], v[38:39], -v[32:33]
	v_mul_f64_e32 v[38:39], v[34:35], v[32:33]
	v_add_f64_e64 v[40:41], v[34:35], -v[40:41]
	s_delay_alu instid0(VALU_DEP_3) | instskip(NEXT) | instid1(VALU_DEP_3)
	v_add_f64_e32 v[30:31], v[30:31], v[36:37]
	v_fma_f64 v[36:37], v[34:35], v[32:33], -v[38:39]
	s_delay_alu instid0(VALU_DEP_3) | instskip(NEXT) | instid1(VALU_DEP_2)
	v_add_f64_e64 v[28:29], v[28:29], -v[40:41]
	v_fma_f64 v[30:31], v[34:35], v[30:31], v[36:37]
	s_delay_alu instid0(VALU_DEP_1) | instskip(SKIP_1) | instid1(VALU_DEP_2)
	v_fma_f64 v[28:29], v[28:29], v[32:33], v[30:31]
	v_frexp_exp_i32_f64_e32 v32, v[22:23]
	v_add_f64_e32 v[30:31], v[38:39], v[28:29]
	s_delay_alu instid0(VALU_DEP_2) | instskip(NEXT) | instid1(VALU_DEP_1)
	v_subrev_co_ci_u32_e64 v32, null, 0, v32, vcc_lo
	v_cvt_f64_i32_e32 v[32:33], v32
	s_delay_alu instid0(VALU_DEP_3) | instskip(SKIP_1) | instid1(VALU_DEP_3)
	v_add_f64_e32 v[34:35], v[26:27], v[30:31]
	v_add_f64_e64 v[36:37], v[30:31], -v[38:39]
	v_mul_f64_e32 v[38:39], s[48:49], v[32:33]
	s_delay_alu instid0(VALU_DEP_3) | instskip(NEXT) | instid1(VALU_DEP_3)
	v_add_f64_e64 v[26:27], v[34:35], -v[26:27]
	v_add_f64_e64 v[28:29], v[28:29], -v[36:37]
	s_delay_alu instid0(VALU_DEP_3) | instskip(NEXT) | instid1(VALU_DEP_3)
	v_fma_f64 v[36:37], v[32:33], s[48:49], -v[38:39]
	v_add_f64_e64 v[26:27], v[30:31], -v[26:27]
	s_delay_alu instid0(VALU_DEP_3) | instskip(NEXT) | instid1(VALU_DEP_3)
	v_add_f64_e32 v[24:25], v[24:25], v[28:29]
	v_fma_f64 v[28:29], v[32:33], s[50:51], v[36:37]
	s_delay_alu instid0(VALU_DEP_2) | instskip(NEXT) | instid1(VALU_DEP_2)
	v_add_f64_e32 v[24:25], v[24:25], v[26:27]
	v_add_f64_e32 v[26:27], v[38:39], v[28:29]
	s_delay_alu instid0(VALU_DEP_2) | instskip(NEXT) | instid1(VALU_DEP_2)
	v_add_f64_e32 v[30:31], v[34:35], v[24:25]
	v_add_f64_e64 v[38:39], v[26:27], -v[38:39]
	s_delay_alu instid0(VALU_DEP_2) | instskip(SKIP_1) | instid1(VALU_DEP_3)
	v_add_f64_e32 v[32:33], v[26:27], v[30:31]
	v_add_f64_e64 v[34:35], v[30:31], -v[34:35]
	v_add_f64_e64 v[28:29], v[28:29], -v[38:39]
	s_delay_alu instid0(VALU_DEP_3) | instskip(NEXT) | instid1(VALU_DEP_3)
	v_add_f64_e64 v[36:37], v[32:33], -v[26:27]
	v_add_f64_e64 v[24:25], v[24:25], -v[34:35]
	s_delay_alu instid0(VALU_DEP_2) | instskip(SKIP_1) | instid1(VALU_DEP_3)
	v_add_f64_e64 v[40:41], v[32:33], -v[36:37]
	v_add_f64_e64 v[30:31], v[30:31], -v[36:37]
	v_add_f64_e32 v[34:35], v[28:29], v[24:25]
	s_delay_alu instid0(VALU_DEP_3) | instskip(NEXT) | instid1(VALU_DEP_1)
	v_add_f64_e64 v[26:27], v[26:27], -v[40:41]
	v_add_f64_e32 v[26:27], v[30:31], v[26:27]
	s_delay_alu instid0(VALU_DEP_3) | instskip(NEXT) | instid1(VALU_DEP_2)
	v_add_f64_e64 v[30:31], v[34:35], -v[28:29]
	v_add_f64_e32 v[26:27], v[34:35], v[26:27]
	s_delay_alu instid0(VALU_DEP_2) | instskip(SKIP_1) | instid1(VALU_DEP_3)
	v_add_f64_e64 v[34:35], v[34:35], -v[30:31]
	v_add_f64_e64 v[24:25], v[24:25], -v[30:31]
	v_add_f64_e32 v[36:37], v[32:33], v[26:27]
	s_delay_alu instid0(VALU_DEP_3) | instskip(NEXT) | instid1(VALU_DEP_2)
	v_add_f64_e64 v[28:29], v[28:29], -v[34:35]
	v_add_f64_e64 v[30:31], v[36:37], -v[32:33]
	s_delay_alu instid0(VALU_DEP_2) | instskip(NEXT) | instid1(VALU_DEP_2)
	v_add_f64_e32 v[24:25], v[24:25], v[28:29]
	v_add_f64_e64 v[26:27], v[26:27], -v[30:31]
	s_delay_alu instid0(VALU_DEP_1) | instskip(NEXT) | instid1(VALU_DEP_1)
	v_add_f64_e32 v[24:25], v[24:25], v[26:27]
	v_add_f64_e32 v[26:27], v[36:37], v[24:25]
	s_delay_alu instid0(VALU_DEP_1) | instskip(SKIP_1) | instid1(VALU_DEP_2)
	v_add_f64_e64 v[28:29], v[26:27], -v[36:37]
	v_mul_f64_e32 v[30:31], v[20:21], v[26:27]
	v_add_f64_e64 v[24:25], v[24:25], -v[28:29]
	s_delay_alu instid0(VALU_DEP_2) | instskip(SKIP_1) | instid1(VALU_DEP_2)
	v_fma_f64 v[26:27], v[20:21], v[26:27], -v[30:31]
	v_cmp_class_f64_e64 vcc_lo, v[30:31], 0x204
	v_fma_f64 v[24:25], v[20:21], v[24:25], v[26:27]
	s_delay_alu instid0(VALU_DEP_1) | instskip(SKIP_1) | instid1(VALU_DEP_1)
	v_add_f64_e32 v[26:27], v[30:31], v[24:25]
	s_wait_alu 0xfffd
	v_dual_cndmask_b32 v29, v27, v31 :: v_dual_cndmask_b32 v28, v26, v30
	v_add_f64_e64 v[26:27], v[26:27], -v[30:31]
	s_delay_alu instid0(VALU_DEP_2)
	v_mul_f64_e32 v[32:33], s[52:53], v[28:29]
	v_cmp_nlt_f64_e64 s1, 0x40900000, v[28:29]
	v_cmp_neq_f64_e64 vcc_lo, 0x7ff00000, |v[28:29]|
	v_cmp_ngt_f64_e64 s2, 0xc090cc00, v[28:29]
	v_add_f64_e64 v[24:25], v[24:25], -v[26:27]
	v_rndne_f64_e32 v[32:33], v[32:33]
	s_wait_alu 0xfffd
	s_delay_alu instid0(VALU_DEP_2) | instskip(SKIP_2) | instid1(VALU_DEP_3)
	v_dual_cndmask_b32 v25, 0, v25 :: v_dual_cndmask_b32 v24, 0, v24
	s_and_b32 vcc_lo, s2, s1
	v_cmp_eq_f64_e64 s8, |v[22:23]|, 0
	v_fma_f64 v[34:35], v[32:33], s[54:55], v[28:29]
	v_cvt_i32_f64_e32 v38, v[32:33]
	v_cmp_class_f64_e64 s9, v[22:23], 0x204
	s_delay_alu instid0(VALU_DEP_3) | instskip(NEXT) | instid1(VALU_DEP_1)
	v_fma_f64 v[34:35], v[32:33], s[56:57], v[34:35]
	v_fma_f64 v[36:37], v[34:35], s[60:61], s[58:59]
	s_delay_alu instid0(VALU_DEP_1) | instskip(NEXT) | instid1(VALU_DEP_1)
	v_fma_f64 v[36:37], v[34:35], v[36:37], s[62:63]
	v_fma_f64 v[36:37], v[34:35], v[36:37], s[64:65]
	s_delay_alu instid0(VALU_DEP_1) | instskip(NEXT) | instid1(VALU_DEP_1)
	;; [unrolled: 3-line block ×5, first 2 shown]
	v_fma_f64 v[36:37], v[34:35], v[36:37], 1.0
	v_fma_f64 v[32:33], v[34:35], v[36:37], 1.0
	s_delay_alu instid0(VALU_DEP_1) | instskip(NEXT) | instid1(VALU_DEP_1)
	v_ldexp_f64 v[30:31], v[32:33], v38
	v_cndmask_b32_e64 v26, 0x7ff00000, v31, s1
	v_cmp_neq_f64_e64 s1, v[20:21], |v[20:21]|
	s_delay_alu instid0(VALU_DEP_2) | instskip(SKIP_4) | instid1(VALU_DEP_2)
	v_cndmask_b32_e64 v27, 0, v26, s2
	v_cmp_lt_f64_e64 s2, |v[22:23]|, 1.0
	s_wait_alu 0xfffe
	v_cndmask_b32_e32 v26, 0, v30, vcc_lo
	v_cmp_gt_f64_e32 vcc_lo, 0, v[20:21]
	v_fma_f64 v[24:25], v[26:27], v[24:25], v[26:27]
	s_xor_b32 s1, s1, s2
	v_cmp_neq_f64_e64 s2, |v[22:23]|, 1.0
	s_wait_alu 0xfffe
	v_cndmask_b32_e64 v28, 0x7ff00000, 0, s1
	v_cmp_class_f64_e64 s1, v[26:27], 0x204
	s_xor_b32 s10, vcc_lo, s8
	s_or_b32 vcc_lo, s8, s9
	v_cndmask_b32_e64 v25, v25, v27, s1
	v_cndmask_b32_e64 v27, 0x3ff00000, v28, s2
	v_cmp_class_f64_e64 s2, v[20:21], 0x204
	s_wait_alu 0xfffe
	v_cndmask_b32_e64 v28, 0x7ff00000, 0, s10
	v_and_b32_e32 v25, 0x7fffffff, v25
	s_wait_alu 0xf1ff
	s_delay_alu instid0(VALU_DEP_1) | instskip(NEXT) | instid1(VALU_DEP_1)
	v_cndmask_b32_e64 v25, v25, v27, s2
	v_cndmask_b32_e32 v25, v25, v28, vcc_lo
	v_cndmask_b32_e64 v24, v24, v26, s1
	s_or_b32 s1, vcc_lo, s2
	v_cmp_o_f64_e64 vcc_lo, |v[22:23]|, v[20:21]
	s_wait_alu 0xfffe
	s_delay_alu instid0(VALU_DEP_2) | instskip(SKIP_1) | instid1(VALU_DEP_1)
	v_cndmask_b32_e64 v24, v24, 0, s1
	s_wait_alu 0xfffd
	v_cndmask_b32_e32 v20, 0, v24, vcc_lo
	v_cndmask_b32_e32 v21, 0x7ff80000, v25, vcc_lo
	s_delay_alu instid0(VALU_DEP_1) | instskip(NEXT) | instid1(VALU_DEP_1)
	v_mul_f64_e32 v[14:15], v[14:15], v[20:21]
	v_mul_f64_e32 v[14:15], v[6:7], v[14:15]
	s_delay_alu instid0(VALU_DEP_1) | instskip(NEXT) | instid1(VALU_DEP_1)
	v_div_scale_f64 v[20:21], null, v[12:13], v[12:13], v[14:15]
	v_rcp_f64_e32 v[22:23], v[20:21]
	s_delay_alu instid0(TRANS32_DEP_1) | instskip(NEXT) | instid1(VALU_DEP_1)
	v_fma_f64 v[24:25], -v[20:21], v[22:23], 1.0
	v_fma_f64 v[22:23], v[22:23], v[24:25], v[22:23]
	s_delay_alu instid0(VALU_DEP_1) | instskip(NEXT) | instid1(VALU_DEP_1)
	v_fma_f64 v[24:25], -v[20:21], v[22:23], 1.0
	v_fma_f64 v[22:23], v[22:23], v[24:25], v[22:23]
	v_div_scale_f64 v[24:25], vcc_lo, v[14:15], v[12:13], v[14:15]
	s_delay_alu instid0(VALU_DEP_1) | instskip(NEXT) | instid1(VALU_DEP_1)
	v_mul_f64_e32 v[26:27], v[24:25], v[22:23]
	v_fma_f64 v[20:21], -v[20:21], v[26:27], v[24:25]
	s_wait_alu 0xfffd
	s_delay_alu instid0(VALU_DEP_1) | instskip(NEXT) | instid1(VALU_DEP_1)
	v_div_fmas_f64 v[20:21], v[20:21], v[22:23], v[26:27]
	v_div_fixup_f64 v[14:15], v[20:21], v[12:13], v[14:15]
	s_branch .LBB30_11
.LBB30_14:
	s_endpgm
	.section	.rodata,"a",@progbits
	.p2align	6, 0x0
	.amdhsa_kernel _ZN2at6native12_GLOBAL__N_131cdist_backward_kernel_cuda_implIdNS1_5distsIdE1pEEEvPT_PKS6_S9_S9_S9_S6_lllllll
		.amdhsa_group_segment_fixed_size 0
		.amdhsa_private_segment_fixed_size 0
		.amdhsa_kernarg_size 360
		.amdhsa_user_sgpr_count 2
		.amdhsa_user_sgpr_dispatch_ptr 0
		.amdhsa_user_sgpr_queue_ptr 0
		.amdhsa_user_sgpr_kernarg_segment_ptr 1
		.amdhsa_user_sgpr_dispatch_id 0
		.amdhsa_user_sgpr_private_segment_size 0
		.amdhsa_wavefront_size32 1
		.amdhsa_uses_dynamic_stack 0
		.amdhsa_enable_private_segment 0
		.amdhsa_system_sgpr_workgroup_id_x 1
		.amdhsa_system_sgpr_workgroup_id_y 1
		.amdhsa_system_sgpr_workgroup_id_z 1
		.amdhsa_system_sgpr_workgroup_info 0
		.amdhsa_system_vgpr_workitem_id 1
		.amdhsa_next_free_vgpr 44
		.amdhsa_next_free_sgpr 79
		.amdhsa_reserve_vcc 1
		.amdhsa_float_round_mode_32 0
		.amdhsa_float_round_mode_16_64 0
		.amdhsa_float_denorm_mode_32 3
		.amdhsa_float_denorm_mode_16_64 3
		.amdhsa_fp16_overflow 0
		.amdhsa_workgroup_processor_mode 1
		.amdhsa_memory_ordered 1
		.amdhsa_forward_progress 1
		.amdhsa_inst_pref_size 52
		.amdhsa_round_robin_scheduling 0
		.amdhsa_exception_fp_ieee_invalid_op 0
		.amdhsa_exception_fp_denorm_src 0
		.amdhsa_exception_fp_ieee_div_zero 0
		.amdhsa_exception_fp_ieee_overflow 0
		.amdhsa_exception_fp_ieee_underflow 0
		.amdhsa_exception_fp_ieee_inexact 0
		.amdhsa_exception_int_div_zero 0
	.end_amdhsa_kernel
	.section	.text._ZN2at6native12_GLOBAL__N_131cdist_backward_kernel_cuda_implIdNS1_5distsIdE1pEEEvPT_PKS6_S9_S9_S9_S6_lllllll,"axG",@progbits,_ZN2at6native12_GLOBAL__N_131cdist_backward_kernel_cuda_implIdNS1_5distsIdE1pEEEvPT_PKS6_S9_S9_S9_S6_lllllll,comdat
.Lfunc_end30:
	.size	_ZN2at6native12_GLOBAL__N_131cdist_backward_kernel_cuda_implIdNS1_5distsIdE1pEEEvPT_PKS6_S9_S9_S9_S6_lllllll, .Lfunc_end30-_ZN2at6native12_GLOBAL__N_131cdist_backward_kernel_cuda_implIdNS1_5distsIdE1pEEEvPT_PKS6_S9_S9_S9_S6_lllllll
                                        ; -- End function
	.set _ZN2at6native12_GLOBAL__N_131cdist_backward_kernel_cuda_implIdNS1_5distsIdE1pEEEvPT_PKS6_S9_S9_S9_S6_lllllll.num_vgpr, 44
	.set _ZN2at6native12_GLOBAL__N_131cdist_backward_kernel_cuda_implIdNS1_5distsIdE1pEEEvPT_PKS6_S9_S9_S9_S6_lllllll.num_agpr, 0
	.set _ZN2at6native12_GLOBAL__N_131cdist_backward_kernel_cuda_implIdNS1_5distsIdE1pEEEvPT_PKS6_S9_S9_S9_S6_lllllll.numbered_sgpr, 79
	.set _ZN2at6native12_GLOBAL__N_131cdist_backward_kernel_cuda_implIdNS1_5distsIdE1pEEEvPT_PKS6_S9_S9_S9_S6_lllllll.num_named_barrier, 0
	.set _ZN2at6native12_GLOBAL__N_131cdist_backward_kernel_cuda_implIdNS1_5distsIdE1pEEEvPT_PKS6_S9_S9_S9_S6_lllllll.private_seg_size, 0
	.set _ZN2at6native12_GLOBAL__N_131cdist_backward_kernel_cuda_implIdNS1_5distsIdE1pEEEvPT_PKS6_S9_S9_S9_S6_lllllll.uses_vcc, 1
	.set _ZN2at6native12_GLOBAL__N_131cdist_backward_kernel_cuda_implIdNS1_5distsIdE1pEEEvPT_PKS6_S9_S9_S9_S6_lllllll.uses_flat_scratch, 0
	.set _ZN2at6native12_GLOBAL__N_131cdist_backward_kernel_cuda_implIdNS1_5distsIdE1pEEEvPT_PKS6_S9_S9_S9_S6_lllllll.has_dyn_sized_stack, 0
	.set _ZN2at6native12_GLOBAL__N_131cdist_backward_kernel_cuda_implIdNS1_5distsIdE1pEEEvPT_PKS6_S9_S9_S9_S6_lllllll.has_recursion, 0
	.set _ZN2at6native12_GLOBAL__N_131cdist_backward_kernel_cuda_implIdNS1_5distsIdE1pEEEvPT_PKS6_S9_S9_S9_S6_lllllll.has_indirect_call, 0
	.section	.AMDGPU.csdata,"",@progbits
; Kernel info:
; codeLenInByte = 6576
; TotalNumSgprs: 81
; NumVgprs: 44
; ScratchSize: 0
; MemoryBound: 0
; FloatMode: 240
; IeeeMode: 1
; LDSByteSize: 0 bytes/workgroup (compile time only)
; SGPRBlocks: 0
; VGPRBlocks: 5
; NumSGPRsForWavesPerEU: 81
; NumVGPRsForWavesPerEU: 44
; Occupancy: 16
; WaveLimiterHint : 0
; COMPUTE_PGM_RSRC2:SCRATCH_EN: 0
; COMPUTE_PGM_RSRC2:USER_SGPR: 2
; COMPUTE_PGM_RSRC2:TRAP_HANDLER: 0
; COMPUTE_PGM_RSRC2:TGID_X_EN: 1
; COMPUTE_PGM_RSRC2:TGID_Y_EN: 1
; COMPUTE_PGM_RSRC2:TGID_Z_EN: 1
; COMPUTE_PGM_RSRC2:TIDIG_COMP_CNT: 1
	.section	.text._ZN2at6native12_GLOBAL__N_131cdist_backward_kernel_cuda_implIdNS1_5distsIdE3oneEEEvPT_PKS6_S9_S9_S9_S6_lllllll,"axG",@progbits,_ZN2at6native12_GLOBAL__N_131cdist_backward_kernel_cuda_implIdNS1_5distsIdE3oneEEEvPT_PKS6_S9_S9_S9_S6_lllllll,comdat
	.globl	_ZN2at6native12_GLOBAL__N_131cdist_backward_kernel_cuda_implIdNS1_5distsIdE3oneEEEvPT_PKS6_S9_S9_S9_S6_lllllll ; -- Begin function _ZN2at6native12_GLOBAL__N_131cdist_backward_kernel_cuda_implIdNS1_5distsIdE3oneEEEvPT_PKS6_S9_S9_S9_S6_lllllll
	.p2align	8
	.type	_ZN2at6native12_GLOBAL__N_131cdist_backward_kernel_cuda_implIdNS1_5distsIdE3oneEEEvPT_PKS6_S9_S9_S9_S6_lllllll,@function
_ZN2at6native12_GLOBAL__N_131cdist_backward_kernel_cuda_implIdNS1_5distsIdE3oneEEEvPT_PKS6_S9_S9_S9_S6_lllllll: ; @_ZN2at6native12_GLOBAL__N_131cdist_backward_kernel_cuda_implIdNS1_5distsIdE3oneEEEvPT_PKS6_S9_S9_S9_S6_lllllll
; %bb.0:
	s_clause 0x1
	s_load_b64 s[2:3], s[0:1], 0x70
	s_load_b256 s[4:11], s[0:1], 0x30
	s_and_b32 s12, ttmp7, 0xffff
	v_bfe_u32 v1, v0, 10, 10
	s_lshr_b32 s13, ttmp7, 16
	s_wait_kmcnt 0x0
	s_mul_i32 s2, s2, s12
	s_lshr_b32 s12, s3, 16
	s_add_co_i32 s2, s2, s13
	s_delay_alu instid0(SALU_CYCLE_1) | instskip(SKIP_2) | instid1(VALU_DEP_1)
	v_mad_co_u64_u32 v[2:3], null, s2, s12, v[1:2]
	s_mov_b32 s2, exec_lo
	v_ashrrev_i32_e32 v3, 31, v2
	v_cmpx_gt_i64_e64 s[10:11], v[2:3]
	s_cbranch_execz .LBB31_12
; %bb.1:
	v_and_b32_e32 v0, 0x3ff, v0
	s_and_b32 s3, s3, 0xffff
	s_load_b256 s[12:19], s[0:1], 0x50
	s_delay_alu instid0(VALU_DEP_1) | instskip(NEXT) | instid1(VALU_DEP_1)
	v_mad_co_u64_u32 v[0:1], null, ttmp9, s3, v[0:1]
	v_ashrrev_i32_e32 v1, 31, v0
	s_delay_alu instid0(VALU_DEP_1)
	v_cmp_gt_i64_e32 vcc_lo, s[8:9], v[0:1]
	s_and_b32 exec_lo, exec_lo, vcc_lo
	s_cbranch_execz .LBB31_12
; %bb.2:
	s_wait_kmcnt 0x0
	v_or_b32_e32 v5, s13, v3
	v_mov_b32_e32 v4, 0
	s_delay_alu instid0(VALU_DEP_1)
	v_cmp_ne_u64_e32 vcc_lo, 0, v[4:5]
                                        ; implicit-def: $vgpr4_vgpr5
	s_and_saveexec_b32 s2, vcc_lo
	s_wait_alu 0xfffe
	s_xor_b32 s20, exec_lo, s2
	s_cbranch_execz .LBB31_4
; %bb.3:
	s_ashr_i32 s10, s13, 31
	s_mov_b32 s29, 0
	s_wait_alu 0xfffe
	s_mov_b32 s11, s10
	v_ashrrev_i32_e32 v10, 31, v3
	s_wait_alu 0xfffe
	s_add_nc_u64 s[18:19], s[12:13], s[10:11]
	s_delay_alu instid0(SALU_CYCLE_1) | instskip(NEXT) | instid1(VALU_DEP_1)
	s_xor_b64 s[18:19], s[18:19], s[10:11]
	v_add_co_u32 v4, vcc_lo, v2, v10
	s_cvt_f32_u32 s2, s18
	s_cvt_f32_u32 s11, s19
	s_sub_nc_u64 s[24:25], 0, s[18:19]
	v_add_co_ci_u32_e64 v5, null, v3, v10, vcc_lo
	s_wait_alu 0xfffe
	s_fmamk_f32 s2, s11, 0x4f800000, s2
	v_xor_b32_e32 v11, v4, v10
	s_delay_alu instid0(VALU_DEP_2) | instskip(SKIP_2) | instid1(TRANS32_DEP_1)
	v_xor_b32_e32 v12, v5, v10
	s_wait_alu 0xfffe
	v_s_rcp_f32 s2, s2
	s_mul_f32 s2, s2, 0x5f7ffffc
	s_wait_alu 0xfffe
	s_delay_alu instid0(SALU_CYCLE_2) | instskip(SKIP_1) | instid1(SALU_CYCLE_2)
	s_mul_f32 s11, s2, 0x2f800000
	s_wait_alu 0xfffe
	s_trunc_f32 s11, s11
	s_wait_alu 0xfffe
	s_delay_alu instid0(SALU_CYCLE_2) | instskip(SKIP_2) | instid1(SALU_CYCLE_1)
	s_fmamk_f32 s2, s11, 0xcf800000, s2
	s_cvt_u32_f32 s23, s11
	s_wait_alu 0xfffe
	s_cvt_u32_f32 s22, s2
	s_delay_alu instid0(SALU_CYCLE_3) | instskip(NEXT) | instid1(SALU_CYCLE_1)
	s_mul_u64 s[26:27], s[24:25], s[22:23]
	s_mul_hi_u32 s31, s22, s27
	s_mul_i32 s30, s22, s27
	s_mul_hi_u32 s28, s22, s26
	s_mul_i32 s11, s23, s26
	s_add_nc_u64 s[30:31], s[28:29], s[30:31]
	s_mul_hi_u32 s2, s23, s26
	s_mul_hi_u32 s21, s23, s27
	s_wait_alu 0xfffe
	s_add_co_u32 s11, s30, s11
	s_add_co_ci_u32 s28, s31, s2
	s_mul_i32 s26, s23, s27
	s_add_co_ci_u32 s27, s21, 0
	s_delay_alu instid0(SALU_CYCLE_1) | instskip(NEXT) | instid1(SALU_CYCLE_1)
	s_add_nc_u64 s[26:27], s[28:29], s[26:27]
	s_add_co_u32 s22, s22, s26
	s_cselect_b32 s2, -1, 0
	s_wait_alu 0xfffe
	s_cmp_lg_u32 s2, 0
	s_add_co_ci_u32 s23, s23, s27
	s_delay_alu instid0(SALU_CYCLE_1) | instskip(NEXT) | instid1(SALU_CYCLE_1)
	s_mul_u64 s[24:25], s[24:25], s[22:23]
	s_mul_hi_u32 s27, s22, s25
	s_mul_i32 s26, s22, s25
	s_mul_hi_u32 s28, s22, s24
	s_mul_i32 s11, s23, s24
	s_add_nc_u64 s[26:27], s[28:29], s[26:27]
	s_mul_hi_u32 s2, s23, s24
	s_mul_hi_u32 s21, s23, s25
	s_wait_alu 0xfffe
	s_add_co_u32 s11, s26, s11
	s_add_co_ci_u32 s28, s27, s2
	s_mul_i32 s24, s23, s25
	s_add_co_ci_u32 s25, s21, 0
	s_delay_alu instid0(SALU_CYCLE_1) | instskip(NEXT) | instid1(SALU_CYCLE_1)
	s_add_nc_u64 s[24:25], s[28:29], s[24:25]
	s_add_co_u32 s2, s22, s24
	s_cselect_b32 s11, -1, 0
	s_wait_alu 0xfffe
	v_mul_hi_u32 v13, v11, s2
	s_cmp_lg_u32 s11, 0
	v_mad_co_u64_u32 v[6:7], null, v12, s2, 0
	s_add_co_ci_u32 s11, s23, s25
	s_wait_alu 0xfffe
	v_mad_co_u64_u32 v[4:5], null, v11, s11, 0
	v_mad_co_u64_u32 v[8:9], null, v12, s11, 0
	s_delay_alu instid0(VALU_DEP_2) | instskip(SKIP_1) | instid1(VALU_DEP_3)
	v_add_co_u32 v4, vcc_lo, v13, v4
	s_wait_alu 0xfffd
	v_add_co_ci_u32_e64 v5, null, 0, v5, vcc_lo
	s_delay_alu instid0(VALU_DEP_2) | instskip(SKIP_1) | instid1(VALU_DEP_2)
	v_add_co_u32 v4, vcc_lo, v4, v6
	s_wait_alu 0xfffd
	v_add_co_ci_u32_e32 v4, vcc_lo, v5, v7, vcc_lo
	s_wait_alu 0xfffd
	v_add_co_ci_u32_e32 v5, vcc_lo, 0, v9, vcc_lo
	s_delay_alu instid0(VALU_DEP_2) | instskip(SKIP_1) | instid1(VALU_DEP_2)
	v_add_co_u32 v6, vcc_lo, v4, v8
	s_wait_alu 0xfffd
	v_add_co_ci_u32_e64 v7, null, 0, v5, vcc_lo
	s_delay_alu instid0(VALU_DEP_2) | instskip(SKIP_1) | instid1(VALU_DEP_3)
	v_mul_lo_u32 v8, s19, v6
	v_mad_co_u64_u32 v[4:5], null, s18, v6, 0
	v_mul_lo_u32 v9, s18, v7
	s_delay_alu instid0(VALU_DEP_2) | instskip(NEXT) | instid1(VALU_DEP_2)
	v_sub_co_u32 v4, vcc_lo, v11, v4
	v_add3_u32 v5, v5, v9, v8
	v_add_co_u32 v9, s2, v6, 2
	s_wait_alu 0xf1ff
	v_add_co_ci_u32_e64 v11, null, 0, v7, s2
	s_delay_alu instid0(VALU_DEP_3) | instskip(SKIP_3) | instid1(VALU_DEP_3)
	v_sub_nc_u32_e32 v8, v12, v5
	v_sub_co_u32 v13, s2, v4, s18
	s_wait_alu 0xfffd
	v_sub_co_ci_u32_e64 v5, null, v12, v5, vcc_lo
	v_subrev_co_ci_u32_e64 v8, null, s19, v8, vcc_lo
	s_delay_alu instid0(VALU_DEP_3) | instskip(SKIP_1) | instid1(VALU_DEP_2)
	v_cmp_le_u32_e32 vcc_lo, s18, v13
	s_wait_alu 0xf1ff
	v_subrev_co_ci_u32_e64 v8, null, 0, v8, s2
	s_wait_alu 0xfffd
	v_cndmask_b32_e64 v12, 0, -1, vcc_lo
	s_delay_alu instid0(VALU_DEP_2)
	v_cmp_le_u32_e32 vcc_lo, s19, v8
	s_wait_alu 0xfffd
	v_cndmask_b32_e64 v13, 0, -1, vcc_lo
	v_cmp_le_u32_e32 vcc_lo, s18, v4
	s_wait_alu 0xfffd
	v_cndmask_b32_e64 v4, 0, -1, vcc_lo
	;; [unrolled: 3-line block ×3, first 2 shown]
	v_cmp_eq_u32_e32 vcc_lo, s19, v8
	s_wait_alu 0xfffd
	v_cndmask_b32_e32 v8, v13, v12, vcc_lo
	v_add_co_u32 v12, vcc_lo, v6, 1
	s_wait_alu 0xfffd
	v_add_co_ci_u32_e64 v13, null, 0, v7, vcc_lo
	v_cmp_eq_u32_e32 vcc_lo, s19, v5
	s_wait_alu 0xfffd
	v_cndmask_b32_e32 v4, v14, v4, vcc_lo
	v_cmp_ne_u32_e32 vcc_lo, 0, v8
	v_xor_b32_e32 v8, s10, v10
	s_wait_alu 0xfffd
	v_cndmask_b32_e32 v5, v13, v11, vcc_lo
	v_cmp_ne_u32_e64 s2, 0, v4
	v_cndmask_b32_e32 v4, v12, v9, vcc_lo
	s_wait_alu 0xf1ff
	s_delay_alu instid0(VALU_DEP_2) | instskip(NEXT) | instid1(VALU_DEP_2)
	v_cndmask_b32_e64 v5, v7, v5, s2
	v_cndmask_b32_e64 v4, v6, v4, s2
	s_delay_alu instid0(VALU_DEP_2) | instskip(NEXT) | instid1(VALU_DEP_2)
	v_xor_b32_e32 v5, v5, v8
	v_xor_b32_e32 v4, v4, v8
	s_delay_alu instid0(VALU_DEP_1) | instskip(SKIP_1) | instid1(VALU_DEP_3)
	v_sub_co_u32 v4, vcc_lo, v4, v8
	s_wait_alu 0xfffd
	v_sub_co_ci_u32_e64 v5, null, v5, v8, vcc_lo
.LBB31_4:
	s_and_not1_saveexec_b32 s2, s20
	s_cbranch_execz .LBB31_6
; %bb.5:
	v_cvt_f32_u32_e32 v4, s12
	s_sub_co_i32 s10, 0, s12
	s_delay_alu instid0(VALU_DEP_1) | instskip(NEXT) | instid1(TRANS32_DEP_1)
	v_rcp_iflag_f32_e32 v4, v4
	v_mul_f32_e32 v4, 0x4f7ffffe, v4
	s_delay_alu instid0(VALU_DEP_1) | instskip(SKIP_1) | instid1(VALU_DEP_1)
	v_cvt_u32_f32_e32 v4, v4
	s_wait_alu 0xfffe
	v_mul_lo_u32 v5, s10, v4
	s_delay_alu instid0(VALU_DEP_1) | instskip(NEXT) | instid1(VALU_DEP_1)
	v_mul_hi_u32 v5, v4, v5
	v_add_nc_u32_e32 v4, v4, v5
	s_delay_alu instid0(VALU_DEP_1) | instskip(NEXT) | instid1(VALU_DEP_1)
	v_mul_hi_u32 v4, v2, v4
	v_mul_lo_u32 v5, v4, s12
	v_add_nc_u32_e32 v6, 1, v4
	s_delay_alu instid0(VALU_DEP_2) | instskip(NEXT) | instid1(VALU_DEP_1)
	v_sub_nc_u32_e32 v5, v2, v5
	v_subrev_nc_u32_e32 v7, s12, v5
	v_cmp_le_u32_e32 vcc_lo, s12, v5
	s_wait_alu 0xfffd
	s_delay_alu instid0(VALU_DEP_2) | instskip(NEXT) | instid1(VALU_DEP_1)
	v_dual_cndmask_b32 v5, v5, v7 :: v_dual_cndmask_b32 v4, v4, v6
	v_cmp_le_u32_e32 vcc_lo, s12, v5
	s_delay_alu instid0(VALU_DEP_2) | instskip(SKIP_1) | instid1(VALU_DEP_1)
	v_dual_mov_b32 v5, 0 :: v_dual_add_nc_u32 v6, 1, v4
	s_wait_alu 0xfffd
	v_cndmask_b32_e32 v4, v4, v6, vcc_lo
.LBB31_6:
	s_wait_alu 0xfffe
	s_or_b32 exec_lo, exec_lo, s2
	v_mul_lo_u32 v7, v5, s12
	s_delay_alu instid0(VALU_DEP_2)
	v_mul_lo_u32 v8, v4, s13
	v_mad_co_u64_u32 v[5:6], null, v4, s12, 0
	s_add_nc_u64 s[10:11], s[0:1], 0x68
	v_add3_u32 v6, v6, v8, v7
	v_sub_co_u32 v8, vcc_lo, v2, v5
	s_wait_alu 0xfffd
	s_delay_alu instid0(VALU_DEP_2) | instskip(SKIP_1) | instid1(VALU_DEP_2)
	v_sub_co_ci_u32_e64 v9, null, v3, v6, vcc_lo
	v_mov_b32_e32 v6, 0
	v_or_b32_e32 v7, s7, v9
	s_delay_alu instid0(VALU_DEP_1)
	v_cmp_ne_u64_e32 vcc_lo, 0, v[6:7]
                                        ; implicit-def: $vgpr6_vgpr7
	s_and_saveexec_b32 s2, vcc_lo
	s_wait_alu 0xfffe
	s_xor_b32 s20, exec_lo, s2
	s_cbranch_execz .LBB31_8
; %bb.7:
	s_ashr_i32 s12, s7, 31
	s_mov_b32 s29, 0
	s_wait_alu 0xfffe
	s_mov_b32 s13, s12
	v_ashrrev_i32_e32 v14, 31, v9
	s_wait_alu 0xfffe
	s_add_nc_u64 s[18:19], s[6:7], s[12:13]
	s_wait_alu 0xfffe
	s_xor_b64 s[18:19], s[18:19], s[12:13]
	v_add_co_u32 v6, vcc_lo, v8, v14
	s_wait_alu 0xfffe
	s_cvt_f32_u32 s2, s18
	s_cvt_f32_u32 s13, s19
	s_sub_nc_u64 s[24:25], 0, s[18:19]
	s_wait_alu 0xfffd
	v_add_co_ci_u32_e64 v7, null, v9, v14, vcc_lo
	s_wait_alu 0xfffe
	s_fmamk_f32 s2, s13, 0x4f800000, s2
	v_xor_b32_e32 v15, v6, v14
	s_delay_alu instid0(VALU_DEP_2) | instskip(SKIP_2) | instid1(TRANS32_DEP_1)
	v_xor_b32_e32 v16, v7, v14
	s_wait_alu 0xfffe
	v_s_rcp_f32 s2, s2
	s_mul_f32 s2, s2, 0x5f7ffffc
	s_wait_alu 0xfffe
	s_delay_alu instid0(SALU_CYCLE_2) | instskip(SKIP_1) | instid1(SALU_CYCLE_2)
	s_mul_f32 s13, s2, 0x2f800000
	s_wait_alu 0xfffe
	s_trunc_f32 s13, s13
	s_wait_alu 0xfffe
	s_delay_alu instid0(SALU_CYCLE_2) | instskip(SKIP_2) | instid1(SALU_CYCLE_1)
	s_fmamk_f32 s2, s13, 0xcf800000, s2
	s_cvt_u32_f32 s23, s13
	s_wait_alu 0xfffe
	s_cvt_u32_f32 s22, s2
	s_delay_alu instid0(SALU_CYCLE_3) | instskip(NEXT) | instid1(SALU_CYCLE_1)
	s_mul_u64 s[26:27], s[24:25], s[22:23]
	s_mul_hi_u32 s31, s22, s27
	s_mul_i32 s30, s22, s27
	s_mul_hi_u32 s28, s22, s26
	s_mul_i32 s13, s23, s26
	s_add_nc_u64 s[30:31], s[28:29], s[30:31]
	s_mul_hi_u32 s2, s23, s26
	s_mul_hi_u32 s21, s23, s27
	s_wait_alu 0xfffe
	s_add_co_u32 s13, s30, s13
	s_add_co_ci_u32 s28, s31, s2
	s_mul_i32 s26, s23, s27
	s_add_co_ci_u32 s27, s21, 0
	s_delay_alu instid0(SALU_CYCLE_1) | instskip(NEXT) | instid1(SALU_CYCLE_1)
	s_add_nc_u64 s[26:27], s[28:29], s[26:27]
	s_add_co_u32 s22, s22, s26
	s_cselect_b32 s2, -1, 0
	s_wait_alu 0xfffe
	s_cmp_lg_u32 s2, 0
	s_add_co_ci_u32 s23, s23, s27
	s_delay_alu instid0(SALU_CYCLE_1) | instskip(NEXT) | instid1(SALU_CYCLE_1)
	s_mul_u64 s[24:25], s[24:25], s[22:23]
	s_mul_hi_u32 s27, s22, s25
	s_mul_i32 s26, s22, s25
	s_mul_hi_u32 s28, s22, s24
	s_mul_i32 s13, s23, s24
	s_add_nc_u64 s[26:27], s[28:29], s[26:27]
	s_mul_hi_u32 s2, s23, s24
	s_mul_hi_u32 s21, s23, s25
	s_wait_alu 0xfffe
	s_add_co_u32 s13, s26, s13
	s_add_co_ci_u32 s28, s27, s2
	s_mul_i32 s24, s23, s25
	s_add_co_ci_u32 s25, s21, 0
	s_delay_alu instid0(SALU_CYCLE_1) | instskip(NEXT) | instid1(SALU_CYCLE_1)
	s_add_nc_u64 s[24:25], s[28:29], s[24:25]
	s_add_co_u32 s2, s22, s24
	s_cselect_b32 s13, -1, 0
	s_wait_alu 0xfffe
	v_mul_hi_u32 v17, v15, s2
	s_cmp_lg_u32 s13, 0
	v_mad_co_u64_u32 v[10:11], null, v16, s2, 0
	s_add_co_ci_u32 s13, s23, s25
	s_wait_alu 0xfffe
	v_mad_co_u64_u32 v[6:7], null, v15, s13, 0
	v_mad_co_u64_u32 v[12:13], null, v16, s13, 0
	s_delay_alu instid0(VALU_DEP_2) | instskip(SKIP_1) | instid1(VALU_DEP_3)
	v_add_co_u32 v6, vcc_lo, v17, v6
	s_wait_alu 0xfffd
	v_add_co_ci_u32_e64 v7, null, 0, v7, vcc_lo
	s_delay_alu instid0(VALU_DEP_2) | instskip(SKIP_1) | instid1(VALU_DEP_2)
	v_add_co_u32 v6, vcc_lo, v6, v10
	s_wait_alu 0xfffd
	v_add_co_ci_u32_e32 v6, vcc_lo, v7, v11, vcc_lo
	s_wait_alu 0xfffd
	v_add_co_ci_u32_e32 v7, vcc_lo, 0, v13, vcc_lo
	s_delay_alu instid0(VALU_DEP_2) | instskip(SKIP_1) | instid1(VALU_DEP_2)
	v_add_co_u32 v10, vcc_lo, v6, v12
	s_wait_alu 0xfffd
	v_add_co_ci_u32_e64 v11, null, 0, v7, vcc_lo
	s_delay_alu instid0(VALU_DEP_2) | instskip(SKIP_1) | instid1(VALU_DEP_3)
	v_mul_lo_u32 v12, s19, v10
	v_mad_co_u64_u32 v[6:7], null, s18, v10, 0
	v_mul_lo_u32 v13, s18, v11
	s_delay_alu instid0(VALU_DEP_2) | instskip(NEXT) | instid1(VALU_DEP_2)
	v_sub_co_u32 v6, vcc_lo, v15, v6
	v_add3_u32 v7, v7, v13, v12
	v_add_co_u32 v13, s2, v10, 2
	s_wait_alu 0xf1ff
	v_add_co_ci_u32_e64 v15, null, 0, v11, s2
	s_delay_alu instid0(VALU_DEP_3) | instskip(SKIP_3) | instid1(VALU_DEP_3)
	v_sub_nc_u32_e32 v12, v16, v7
	v_sub_co_u32 v17, s2, v6, s18
	s_wait_alu 0xfffd
	v_sub_co_ci_u32_e64 v7, null, v16, v7, vcc_lo
	v_subrev_co_ci_u32_e64 v12, null, s19, v12, vcc_lo
	s_delay_alu instid0(VALU_DEP_3) | instskip(SKIP_1) | instid1(VALU_DEP_2)
	v_cmp_le_u32_e32 vcc_lo, s18, v17
	s_wait_alu 0xf1ff
	v_subrev_co_ci_u32_e64 v12, null, 0, v12, s2
	s_wait_alu 0xfffd
	v_cndmask_b32_e64 v16, 0, -1, vcc_lo
	s_delay_alu instid0(VALU_DEP_2)
	v_cmp_le_u32_e32 vcc_lo, s19, v12
	s_wait_alu 0xfffd
	v_cndmask_b32_e64 v17, 0, -1, vcc_lo
	v_cmp_le_u32_e32 vcc_lo, s18, v6
	s_wait_alu 0xfffd
	v_cndmask_b32_e64 v6, 0, -1, vcc_lo
	;; [unrolled: 3-line block ×3, first 2 shown]
	v_cmp_eq_u32_e32 vcc_lo, s19, v12
	s_wait_alu 0xfffd
	v_cndmask_b32_e32 v12, v17, v16, vcc_lo
	v_add_co_u32 v16, vcc_lo, v10, 1
	s_wait_alu 0xfffd
	v_add_co_ci_u32_e64 v17, null, 0, v11, vcc_lo
	v_cmp_eq_u32_e32 vcc_lo, s19, v7
	s_wait_alu 0xfffd
	v_cndmask_b32_e32 v6, v18, v6, vcc_lo
	v_cmp_ne_u32_e32 vcc_lo, 0, v12
	v_xor_b32_e32 v12, s12, v14
	s_wait_alu 0xfffd
	v_cndmask_b32_e32 v7, v17, v15, vcc_lo
	v_cmp_ne_u32_e64 s2, 0, v6
	v_cndmask_b32_e32 v6, v16, v13, vcc_lo
	s_wait_alu 0xf1ff
	s_delay_alu instid0(VALU_DEP_2) | instskip(NEXT) | instid1(VALU_DEP_2)
	v_cndmask_b32_e64 v7, v11, v7, s2
	v_cndmask_b32_e64 v6, v10, v6, s2
	s_delay_alu instid0(VALU_DEP_2) | instskip(NEXT) | instid1(VALU_DEP_2)
	v_xor_b32_e32 v7, v7, v12
	v_xor_b32_e32 v6, v6, v12
	s_delay_alu instid0(VALU_DEP_1) | instskip(SKIP_1) | instid1(VALU_DEP_3)
	v_sub_co_u32 v6, vcc_lo, v6, v12
	s_wait_alu 0xfffd
	v_sub_co_ci_u32_e64 v7, null, v7, v12, vcc_lo
.LBB31_8:
	s_or_saveexec_b32 s12, s20
	s_load_b32 s2, s[10:11], 0x0
	s_xor_b32 exec_lo, exec_lo, s12
	s_cbranch_execz .LBB31_10
; %bb.9:
	v_cvt_f32_u32_e32 v6, s6
	s_sub_co_i32 s10, 0, s6
	s_delay_alu instid0(VALU_DEP_1) | instskip(NEXT) | instid1(TRANS32_DEP_1)
	v_rcp_iflag_f32_e32 v6, v6
	v_mul_f32_e32 v6, 0x4f7ffffe, v6
	s_delay_alu instid0(VALU_DEP_1) | instskip(SKIP_1) | instid1(VALU_DEP_1)
	v_cvt_u32_f32_e32 v6, v6
	s_wait_alu 0xfffe
	v_mul_lo_u32 v7, s10, v6
	s_delay_alu instid0(VALU_DEP_1) | instskip(NEXT) | instid1(VALU_DEP_1)
	v_mul_hi_u32 v7, v6, v7
	v_add_nc_u32_e32 v6, v6, v7
	s_delay_alu instid0(VALU_DEP_1) | instskip(NEXT) | instid1(VALU_DEP_1)
	v_mul_hi_u32 v6, v8, v6
	v_mul_lo_u32 v7, v6, s6
	v_add_nc_u32_e32 v10, 1, v6
	s_delay_alu instid0(VALU_DEP_2) | instskip(NEXT) | instid1(VALU_DEP_1)
	v_sub_nc_u32_e32 v7, v8, v7
	v_subrev_nc_u32_e32 v11, s6, v7
	v_cmp_le_u32_e32 vcc_lo, s6, v7
	s_wait_alu 0xfffd
	s_delay_alu instid0(VALU_DEP_2) | instskip(NEXT) | instid1(VALU_DEP_1)
	v_dual_cndmask_b32 v7, v7, v11 :: v_dual_cndmask_b32 v6, v6, v10
	v_cmp_le_u32_e32 vcc_lo, s6, v7
	s_delay_alu instid0(VALU_DEP_2) | instskip(SKIP_1) | instid1(VALU_DEP_1)
	v_dual_mov_b32 v7, 0 :: v_dual_add_nc_u32 v10, 1, v6
	s_wait_alu 0xfffd
	v_cndmask_b32_e32 v6, v6, v10, vcc_lo
.LBB31_10:
	s_or_b32 exec_lo, exec_lo, s12
	s_load_b256 s[20:27], s[0:1], 0x0
	v_lshlrev_b64_e32 v[2:3], 3, v[2:3]
	v_ashrrev_i32_e32 v16, 31, v4
	v_mul_lo_u32 v21, v7, s6
	v_mul_lo_u32 v22, v6, s7
	v_mad_co_u64_u32 v[12:13], null, v6, s6, 0
	v_mul_lo_u32 v17, v4, s15
	v_mul_lo_u32 v18, v16, s14
	v_mad_co_u64_u32 v[10:11], null, v4, s14, 0
	;; [unrolled: 3-line block ×3, first 2 shown]
	v_add3_u32 v13, v13, v22, v21
	v_mul_lo_u32 v21, v4, s17
	v_add3_u32 v11, v11, v17, v18
	v_mul_lo_u32 v22, v16, s16
	v_lshlrev_b64_e32 v[0:1], 3, v[0:1]
	s_wait_kmcnt 0x0
	v_add_co_u32 v2, vcc_lo, s22, v2
	s_wait_alu 0xfffd
	v_add_co_ci_u32_e64 v3, null, s23, v3, vcc_lo
	v_sub_co_u32 v17, vcc_lo, v8, v12
	v_add3_u32 v15, v15, v20, v19
	global_load_b64 v[2:3], v[2:3], off
	s_wait_alu 0xfffd
	v_sub_co_ci_u32_e64 v18, null, v9, v13, vcc_lo
	v_lshlrev_b64_e32 v[8:9], 3, v[10:11]
	v_lshlrev_b64_e32 v[10:11], 3, v[14:15]
	v_mul_lo_u32 v14, v17, s5
	s_delay_alu instid0(VALU_DEP_4)
	v_mul_lo_u32 v15, v18, s4
	v_mad_co_u64_u32 v[12:13], null, v17, s4, v[6:7]
	v_add_co_u32 v6, vcc_lo, s24, v8
	s_wait_alu 0xfffd
	v_add_co_ci_u32_e64 v7, null, s25, v9, vcc_lo
	s_lshl_b64 s[0:1], s[8:9], 3
	v_add_co_u32 v10, vcc_lo, v6, v10
	v_add3_u32 v8, v15, v13, v14
	v_mul_lo_u32 v13, s8, v5
	v_mul_lo_u32 v20, v12, s9
	v_mad_co_u64_u32 v[14:15], null, v12, s8, 0
	s_delay_alu instid0(VALU_DEP_4) | instskip(SKIP_4) | instid1(VALU_DEP_3)
	v_mul_lo_u32 v19, v8, s8
	v_mov_b32_e32 v12, 0
	v_mad_co_u64_u32 v[4:5], null, v4, s16, 0
	s_wait_alu 0xfffd
	v_add_co_ci_u32_e64 v11, null, v7, v11, vcc_lo
	v_ashrrev_i64 v[12:13], 29, v[12:13]
	v_mul_lo_u32 v18, v18, s8
	v_add3_u32 v15, v15, v20, v19
	v_mul_lo_u32 v19, v17, s9
	v_mad_co_u64_u32 v[16:17], null, v17, s8, 0
	s_wait_alu 0xfffe
	v_add_co_u32 v6, vcc_lo, v10, s0
	v_add3_u32 v5, v5, v21, v22
	s_wait_alu 0xfffd
	v_add_co_ci_u32_e64 v7, null, s1, v11, vcc_lo
	v_add_co_u32 v8, vcc_lo, v10, v0
	v_lshlrev_b64_e32 v[14:15], 3, v[14:15]
	s_wait_alu 0xfffd
	v_add_co_ci_u32_e64 v9, null, v11, v1, vcc_lo
	v_add_co_u32 v20, vcc_lo, s20, v12
	s_wait_alu 0xfffd
	v_add_co_ci_u32_e64 v21, null, s21, v13, vcc_lo
	v_lshlrev_b64_e32 v[12:13], 3, v[4:5]
	v_add3_u32 v17, v17, v19, v18
	v_add_co_u32 v4, vcc_lo, v20, v14
	s_wait_alu 0xfffd
	v_add_co_ci_u32_e64 v5, null, v21, v15, vcc_lo
	s_delay_alu instid0(VALU_DEP_3)
	v_lshlrev_b64_e32 v[14:15], 3, v[16:17]
	v_add_co_u32 v12, vcc_lo, s26, v12
	s_wait_alu 0xfffd
	v_add_co_ci_u32_e64 v13, null, s27, v13, vcc_lo
	s_mul_i32 s2, s2, s3
	v_add_co_u32 v12, vcc_lo, v12, v14
	s_wait_alu 0xfffd
	v_add_co_ci_u32_e64 v13, null, v13, v15, vcc_lo
	s_wait_alu 0xfffe
	s_ashr_i32 s3, s2, 31
	s_mov_b32 s1, 0
	s_wait_alu 0xfffe
	s_lshl_b64 s[2:3], s[2:3], 3
.LBB31_11:                              ; =>This Inner Loop Header: Depth=1
	v_add_co_u32 v14, vcc_lo, v10, v0
	s_wait_alu 0xfffd
	v_add_co_ci_u32_e64 v15, null, v11, v1, vcc_lo
	v_add_co_u32 v16, vcc_lo, v12, v0
	s_wait_alu 0xfffd
	v_add_co_ci_u32_e64 v17, null, v13, v1, vcc_lo
	global_load_b64 v[14:15], v[14:15], off
	global_load_b64 v[16:17], v[16:17], off
	s_wait_loadcnt 0x0
	v_add_f64_e64 v[14:15], v[14:15], -v[16:17]
	s_delay_alu instid0(VALU_DEP_1) | instskip(SKIP_4) | instid1(VALU_DEP_2)
	v_cmp_lt_f64_e32 vcc_lo, 0, v[14:15]
	s_wait_alu 0xfffd
	v_cndmask_b32_e64 v16, 0, 1, vcc_lo
	v_cmp_gt_f64_e32 vcc_lo, 0, v[14:15]
	s_wait_alu 0xfffd
	v_subrev_co_ci_u32_e64 v14, null, 0, v16, vcc_lo
	s_wait_alu 0xfffe
	v_add_co_u32 v8, vcc_lo, v8, s2
	s_wait_alu 0xfffd
	v_add_co_ci_u32_e64 v9, null, s3, v9, vcc_lo
	v_cvt_f64_i32_e32 v[14:15], v14
	v_add_co_u32 v16, vcc_lo, v4, v0
	s_wait_alu 0xfffd
	v_add_co_ci_u32_e64 v17, null, v5, v1, vcc_lo
	v_cmp_ge_u64_e32 vcc_lo, v[8:9], v[6:7]
	v_add_co_u32 v0, s0, v0, s2
	s_wait_alu 0xf1ff
	v_add_co_ci_u32_e64 v1, null, s3, v1, s0
	s_or_b32 s1, vcc_lo, s1
	v_mul_f64_e32 v[14:15], v[2:3], v[14:15]
	global_store_b64 v[16:17], v[14:15], off
	s_wait_alu 0xfffe
	s_and_not1_b32 exec_lo, exec_lo, s1
	s_cbranch_execnz .LBB31_11
.LBB31_12:
	s_endpgm
	.section	.rodata,"a",@progbits
	.p2align	6, 0x0
	.amdhsa_kernel _ZN2at6native12_GLOBAL__N_131cdist_backward_kernel_cuda_implIdNS1_5distsIdE3oneEEEvPT_PKS6_S9_S9_S9_S6_lllllll
		.amdhsa_group_segment_fixed_size 0
		.amdhsa_private_segment_fixed_size 0
		.amdhsa_kernarg_size 360
		.amdhsa_user_sgpr_count 2
		.amdhsa_user_sgpr_dispatch_ptr 0
		.amdhsa_user_sgpr_queue_ptr 0
		.amdhsa_user_sgpr_kernarg_segment_ptr 1
		.amdhsa_user_sgpr_dispatch_id 0
		.amdhsa_user_sgpr_private_segment_size 0
		.amdhsa_wavefront_size32 1
		.amdhsa_uses_dynamic_stack 0
		.amdhsa_enable_private_segment 0
		.amdhsa_system_sgpr_workgroup_id_x 1
		.amdhsa_system_sgpr_workgroup_id_y 1
		.amdhsa_system_sgpr_workgroup_id_z 1
		.amdhsa_system_sgpr_workgroup_info 0
		.amdhsa_system_vgpr_workitem_id 1
		.amdhsa_next_free_vgpr 23
		.amdhsa_next_free_sgpr 32
		.amdhsa_reserve_vcc 1
		.amdhsa_float_round_mode_32 0
		.amdhsa_float_round_mode_16_64 0
		.amdhsa_float_denorm_mode_32 3
		.amdhsa_float_denorm_mode_16_64 3
		.amdhsa_fp16_overflow 0
		.amdhsa_workgroup_processor_mode 1
		.amdhsa_memory_ordered 1
		.amdhsa_forward_progress 1
		.amdhsa_inst_pref_size 23
		.amdhsa_round_robin_scheduling 0
		.amdhsa_exception_fp_ieee_invalid_op 0
		.amdhsa_exception_fp_denorm_src 0
		.amdhsa_exception_fp_ieee_div_zero 0
		.amdhsa_exception_fp_ieee_overflow 0
		.amdhsa_exception_fp_ieee_underflow 0
		.amdhsa_exception_fp_ieee_inexact 0
		.amdhsa_exception_int_div_zero 0
	.end_amdhsa_kernel
	.section	.text._ZN2at6native12_GLOBAL__N_131cdist_backward_kernel_cuda_implIdNS1_5distsIdE3oneEEEvPT_PKS6_S9_S9_S9_S6_lllllll,"axG",@progbits,_ZN2at6native12_GLOBAL__N_131cdist_backward_kernel_cuda_implIdNS1_5distsIdE3oneEEEvPT_PKS6_S9_S9_S9_S6_lllllll,comdat
.Lfunc_end31:
	.size	_ZN2at6native12_GLOBAL__N_131cdist_backward_kernel_cuda_implIdNS1_5distsIdE3oneEEEvPT_PKS6_S9_S9_S9_S6_lllllll, .Lfunc_end31-_ZN2at6native12_GLOBAL__N_131cdist_backward_kernel_cuda_implIdNS1_5distsIdE3oneEEEvPT_PKS6_S9_S9_S9_S6_lllllll
                                        ; -- End function
	.set _ZN2at6native12_GLOBAL__N_131cdist_backward_kernel_cuda_implIdNS1_5distsIdE3oneEEEvPT_PKS6_S9_S9_S9_S6_lllllll.num_vgpr, 23
	.set _ZN2at6native12_GLOBAL__N_131cdist_backward_kernel_cuda_implIdNS1_5distsIdE3oneEEEvPT_PKS6_S9_S9_S9_S6_lllllll.num_agpr, 0
	.set _ZN2at6native12_GLOBAL__N_131cdist_backward_kernel_cuda_implIdNS1_5distsIdE3oneEEEvPT_PKS6_S9_S9_S9_S6_lllllll.numbered_sgpr, 32
	.set _ZN2at6native12_GLOBAL__N_131cdist_backward_kernel_cuda_implIdNS1_5distsIdE3oneEEEvPT_PKS6_S9_S9_S9_S6_lllllll.num_named_barrier, 0
	.set _ZN2at6native12_GLOBAL__N_131cdist_backward_kernel_cuda_implIdNS1_5distsIdE3oneEEEvPT_PKS6_S9_S9_S9_S6_lllllll.private_seg_size, 0
	.set _ZN2at6native12_GLOBAL__N_131cdist_backward_kernel_cuda_implIdNS1_5distsIdE3oneEEEvPT_PKS6_S9_S9_S9_S6_lllllll.uses_vcc, 1
	.set _ZN2at6native12_GLOBAL__N_131cdist_backward_kernel_cuda_implIdNS1_5distsIdE3oneEEEvPT_PKS6_S9_S9_S9_S6_lllllll.uses_flat_scratch, 0
	.set _ZN2at6native12_GLOBAL__N_131cdist_backward_kernel_cuda_implIdNS1_5distsIdE3oneEEEvPT_PKS6_S9_S9_S9_S6_lllllll.has_dyn_sized_stack, 0
	.set _ZN2at6native12_GLOBAL__N_131cdist_backward_kernel_cuda_implIdNS1_5distsIdE3oneEEEvPT_PKS6_S9_S9_S9_S6_lllllll.has_recursion, 0
	.set _ZN2at6native12_GLOBAL__N_131cdist_backward_kernel_cuda_implIdNS1_5distsIdE3oneEEEvPT_PKS6_S9_S9_S9_S6_lllllll.has_indirect_call, 0
	.section	.AMDGPU.csdata,"",@progbits
; Kernel info:
; codeLenInByte = 2892
; TotalNumSgprs: 34
; NumVgprs: 23
; ScratchSize: 0
; MemoryBound: 0
; FloatMode: 240
; IeeeMode: 1
; LDSByteSize: 0 bytes/workgroup (compile time only)
; SGPRBlocks: 0
; VGPRBlocks: 2
; NumSGPRsForWavesPerEU: 34
; NumVGPRsForWavesPerEU: 23
; Occupancy: 16
; WaveLimiterHint : 0
; COMPUTE_PGM_RSRC2:SCRATCH_EN: 0
; COMPUTE_PGM_RSRC2:USER_SGPR: 2
; COMPUTE_PGM_RSRC2:TRAP_HANDLER: 0
; COMPUTE_PGM_RSRC2:TGID_X_EN: 1
; COMPUTE_PGM_RSRC2:TGID_Y_EN: 1
; COMPUTE_PGM_RSRC2:TGID_Z_EN: 1
; COMPUTE_PGM_RSRC2:TIDIG_COMP_CNT: 1
	.section	.text._ZN2at6native12_GLOBAL__N_131cdist_backward_kernel_cuda_implIdNS1_5distsIdE6lt_twoEEEvPT_PKS6_S9_S9_S9_S6_lllllll,"axG",@progbits,_ZN2at6native12_GLOBAL__N_131cdist_backward_kernel_cuda_implIdNS1_5distsIdE6lt_twoEEEvPT_PKS6_S9_S9_S9_S6_lllllll,comdat
	.globl	_ZN2at6native12_GLOBAL__N_131cdist_backward_kernel_cuda_implIdNS1_5distsIdE6lt_twoEEEvPT_PKS6_S9_S9_S9_S6_lllllll ; -- Begin function _ZN2at6native12_GLOBAL__N_131cdist_backward_kernel_cuda_implIdNS1_5distsIdE6lt_twoEEEvPT_PKS6_S9_S9_S9_S6_lllllll
	.p2align	8
	.type	_ZN2at6native12_GLOBAL__N_131cdist_backward_kernel_cuda_implIdNS1_5distsIdE6lt_twoEEEvPT_PKS6_S9_S9_S9_S6_lllllll,@function
_ZN2at6native12_GLOBAL__N_131cdist_backward_kernel_cuda_implIdNS1_5distsIdE6lt_twoEEEvPT_PKS6_S9_S9_S9_S6_lllllll: ; @_ZN2at6native12_GLOBAL__N_131cdist_backward_kernel_cuda_implIdNS1_5distsIdE6lt_twoEEEvPT_PKS6_S9_S9_S9_S6_lllllll
; %bb.0:
	s_clause 0x1
	s_load_b64 s[2:3], s[0:1], 0x70
	s_load_b256 s[20:27], s[0:1], 0x40
	s_and_b32 s4, ttmp7, 0xffff
	v_bfe_u32 v1, v0, 10, 10
	s_lshr_b32 s5, ttmp7, 16
	s_wait_kmcnt 0x0
	s_mul_i32 s2, s2, s4
	s_lshr_b32 s4, s3, 16
	s_add_co_i32 s2, s2, s5
	s_delay_alu instid0(SALU_CYCLE_1) | instskip(SKIP_2) | instid1(VALU_DEP_1)
	v_mad_co_u64_u32 v[2:3], null, s2, s4, v[1:2]
	s_mov_b32 s2, exec_lo
	v_ashrrev_i32_e32 v3, 31, v2
	v_cmpx_gt_i64_e64 s[22:23], v[2:3]
	s_cbranch_execz .LBB32_14
; %bb.1:
	v_and_b32_e32 v0, 0x3ff, v0
	s_and_b32 s33, s3, 0xffff
	s_load_b64 s[22:23], s[0:1], 0x60
	s_delay_alu instid0(VALU_DEP_1) | instskip(NEXT) | instid1(VALU_DEP_1)
	v_mad_co_u64_u32 v[0:1], null, ttmp9, s33, v[0:1]
	v_ashrrev_i32_e32 v1, 31, v0
	s_delay_alu instid0(VALU_DEP_1)
	v_cmp_gt_i64_e32 vcc_lo, s[20:21], v[0:1]
	s_and_b32 exec_lo, exec_lo, vcc_lo
	s_cbranch_execz .LBB32_14
; %bb.2:
	v_or_b32_e32 v5, s25, v3
	v_mov_b32_e32 v4, 0
	s_delay_alu instid0(VALU_DEP_1)
	v_cmp_ne_u64_e32 vcc_lo, 0, v[4:5]
                                        ; implicit-def: $vgpr4_vgpr5
	s_and_saveexec_b32 s2, vcc_lo
	s_wait_alu 0xfffe
	s_xor_b32 s3, exec_lo, s2
	s_cbranch_execz .LBB32_4
; %bb.3:
	s_ashr_i32 s4, s25, 31
	s_mov_b32 s15, 0
	s_wait_alu 0xfffe
	s_mov_b32 s5, s4
	v_ashrrev_i32_e32 v10, 31, v3
	s_wait_alu 0xfffe
	s_add_nc_u64 s[6:7], s[24:25], s[4:5]
	s_delay_alu instid0(SALU_CYCLE_1) | instskip(NEXT) | instid1(VALU_DEP_1)
	s_xor_b64 s[6:7], s[6:7], s[4:5]
	v_add_co_u32 v4, vcc_lo, v2, v10
	s_cvt_f32_u32 s2, s6
	s_cvt_f32_u32 s5, s7
	s_sub_nc_u64 s[10:11], 0, s[6:7]
	v_add_co_ci_u32_e64 v5, null, v3, v10, vcc_lo
	s_wait_alu 0xfffe
	s_fmamk_f32 s2, s5, 0x4f800000, s2
	v_xor_b32_e32 v11, v4, v10
	s_delay_alu instid0(VALU_DEP_2) | instskip(SKIP_2) | instid1(TRANS32_DEP_1)
	v_xor_b32_e32 v12, v5, v10
	s_wait_alu 0xfffe
	v_s_rcp_f32 s2, s2
	s_mul_f32 s2, s2, 0x5f7ffffc
	s_wait_alu 0xfffe
	s_delay_alu instid0(SALU_CYCLE_2) | instskip(SKIP_1) | instid1(SALU_CYCLE_2)
	s_mul_f32 s5, s2, 0x2f800000
	s_wait_alu 0xfffe
	s_trunc_f32 s5, s5
	s_wait_alu 0xfffe
	s_delay_alu instid0(SALU_CYCLE_2) | instskip(SKIP_2) | instid1(SALU_CYCLE_1)
	s_fmamk_f32 s2, s5, 0xcf800000, s2
	s_cvt_u32_f32 s9, s5
	s_wait_alu 0xfffe
	s_cvt_u32_f32 s8, s2
	s_delay_alu instid0(SALU_CYCLE_3) | instskip(NEXT) | instid1(SALU_CYCLE_1)
	s_mul_u64 s[12:13], s[10:11], s[8:9]
	s_mul_hi_u32 s17, s8, s13
	s_mul_i32 s16, s8, s13
	s_mul_hi_u32 s14, s8, s12
	s_mul_i32 s5, s9, s12
	s_add_nc_u64 s[16:17], s[14:15], s[16:17]
	s_mul_hi_u32 s2, s9, s12
	s_mul_hi_u32 s18, s9, s13
	s_wait_alu 0xfffe
	s_add_co_u32 s5, s16, s5
	s_add_co_ci_u32 s14, s17, s2
	s_mul_i32 s12, s9, s13
	s_add_co_ci_u32 s13, s18, 0
	s_delay_alu instid0(SALU_CYCLE_1) | instskip(NEXT) | instid1(SALU_CYCLE_1)
	s_add_nc_u64 s[12:13], s[14:15], s[12:13]
	s_add_co_u32 s8, s8, s12
	s_cselect_b32 s2, -1, 0
	s_wait_alu 0xfffe
	s_cmp_lg_u32 s2, 0
	s_add_co_ci_u32 s9, s9, s13
	s_delay_alu instid0(SALU_CYCLE_1) | instskip(NEXT) | instid1(SALU_CYCLE_1)
	s_mul_u64 s[10:11], s[10:11], s[8:9]
	s_mul_hi_u32 s13, s8, s11
	s_mul_i32 s12, s8, s11
	s_mul_hi_u32 s14, s8, s10
	s_mul_i32 s5, s9, s10
	s_add_nc_u64 s[12:13], s[14:15], s[12:13]
	s_mul_hi_u32 s2, s9, s10
	s_mul_hi_u32 s16, s9, s11
	s_wait_alu 0xfffe
	s_add_co_u32 s5, s12, s5
	s_add_co_ci_u32 s14, s13, s2
	s_mul_i32 s10, s9, s11
	s_add_co_ci_u32 s11, s16, 0
	s_delay_alu instid0(SALU_CYCLE_1) | instskip(NEXT) | instid1(SALU_CYCLE_1)
	s_add_nc_u64 s[10:11], s[14:15], s[10:11]
	s_add_co_u32 s2, s8, s10
	s_cselect_b32 s5, -1, 0
	s_wait_alu 0xfffe
	v_mul_hi_u32 v13, v11, s2
	s_cmp_lg_u32 s5, 0
	v_mad_co_u64_u32 v[6:7], null, v12, s2, 0
	s_add_co_ci_u32 s5, s9, s11
	s_wait_alu 0xfffe
	v_mad_co_u64_u32 v[4:5], null, v11, s5, 0
	v_mad_co_u64_u32 v[8:9], null, v12, s5, 0
	s_delay_alu instid0(VALU_DEP_2) | instskip(SKIP_1) | instid1(VALU_DEP_3)
	v_add_co_u32 v4, vcc_lo, v13, v4
	s_wait_alu 0xfffd
	v_add_co_ci_u32_e64 v5, null, 0, v5, vcc_lo
	s_delay_alu instid0(VALU_DEP_2) | instskip(SKIP_1) | instid1(VALU_DEP_2)
	v_add_co_u32 v4, vcc_lo, v4, v6
	s_wait_alu 0xfffd
	v_add_co_ci_u32_e32 v4, vcc_lo, v5, v7, vcc_lo
	s_wait_alu 0xfffd
	v_add_co_ci_u32_e32 v5, vcc_lo, 0, v9, vcc_lo
	s_delay_alu instid0(VALU_DEP_2) | instskip(SKIP_1) | instid1(VALU_DEP_2)
	v_add_co_u32 v6, vcc_lo, v4, v8
	s_wait_alu 0xfffd
	v_add_co_ci_u32_e64 v7, null, 0, v5, vcc_lo
	s_delay_alu instid0(VALU_DEP_2) | instskip(SKIP_1) | instid1(VALU_DEP_3)
	v_mul_lo_u32 v8, s7, v6
	v_mad_co_u64_u32 v[4:5], null, s6, v6, 0
	v_mul_lo_u32 v9, s6, v7
	s_delay_alu instid0(VALU_DEP_2) | instskip(NEXT) | instid1(VALU_DEP_2)
	v_sub_co_u32 v4, vcc_lo, v11, v4
	v_add3_u32 v5, v5, v9, v8
	v_add_co_u32 v9, s2, v6, 2
	s_wait_alu 0xf1ff
	v_add_co_ci_u32_e64 v11, null, 0, v7, s2
	s_delay_alu instid0(VALU_DEP_3) | instskip(SKIP_3) | instid1(VALU_DEP_3)
	v_sub_nc_u32_e32 v8, v12, v5
	v_sub_co_u32 v13, s2, v4, s6
	s_wait_alu 0xfffd
	v_sub_co_ci_u32_e64 v5, null, v12, v5, vcc_lo
	v_subrev_co_ci_u32_e64 v8, null, s7, v8, vcc_lo
	s_delay_alu instid0(VALU_DEP_3) | instskip(SKIP_1) | instid1(VALU_DEP_2)
	v_cmp_le_u32_e32 vcc_lo, s6, v13
	s_wait_alu 0xf1ff
	v_subrev_co_ci_u32_e64 v8, null, 0, v8, s2
	s_wait_alu 0xfffd
	v_cndmask_b32_e64 v12, 0, -1, vcc_lo
	s_delay_alu instid0(VALU_DEP_2)
	v_cmp_le_u32_e32 vcc_lo, s7, v8
	s_wait_alu 0xfffd
	v_cndmask_b32_e64 v13, 0, -1, vcc_lo
	v_cmp_le_u32_e32 vcc_lo, s6, v4
	s_wait_alu 0xfffd
	v_cndmask_b32_e64 v4, 0, -1, vcc_lo
	;; [unrolled: 3-line block ×3, first 2 shown]
	v_cmp_eq_u32_e32 vcc_lo, s7, v8
	s_wait_alu 0xfffd
	v_cndmask_b32_e32 v8, v13, v12, vcc_lo
	v_add_co_u32 v12, vcc_lo, v6, 1
	s_wait_alu 0xfffd
	v_add_co_ci_u32_e64 v13, null, 0, v7, vcc_lo
	v_cmp_eq_u32_e32 vcc_lo, s7, v5
	s_wait_alu 0xfffd
	v_cndmask_b32_e32 v4, v14, v4, vcc_lo
	v_cmp_ne_u32_e32 vcc_lo, 0, v8
	v_xor_b32_e32 v8, s4, v10
	s_wait_alu 0xfffd
	v_cndmask_b32_e32 v5, v13, v11, vcc_lo
	v_cmp_ne_u32_e64 s2, 0, v4
	v_cndmask_b32_e32 v4, v12, v9, vcc_lo
	s_wait_alu 0xf1ff
	s_delay_alu instid0(VALU_DEP_2) | instskip(NEXT) | instid1(VALU_DEP_2)
	v_cndmask_b32_e64 v5, v7, v5, s2
	v_cndmask_b32_e64 v4, v6, v4, s2
	s_delay_alu instid0(VALU_DEP_2) | instskip(NEXT) | instid1(VALU_DEP_2)
	v_xor_b32_e32 v5, v5, v8
	v_xor_b32_e32 v4, v4, v8
	s_delay_alu instid0(VALU_DEP_1) | instskip(SKIP_1) | instid1(VALU_DEP_3)
	v_sub_co_u32 v4, vcc_lo, v4, v8
	s_wait_alu 0xfffd
	v_sub_co_ci_u32_e64 v5, null, v5, v8, vcc_lo
.LBB32_4:
	s_wait_alu 0xfffe
	s_and_not1_saveexec_b32 s2, s3
	s_cbranch_execz .LBB32_6
; %bb.5:
	v_cvt_f32_u32_e32 v4, s24
	s_sub_co_i32 s3, 0, s24
	s_delay_alu instid0(VALU_DEP_1) | instskip(NEXT) | instid1(TRANS32_DEP_1)
	v_rcp_iflag_f32_e32 v4, v4
	v_mul_f32_e32 v4, 0x4f7ffffe, v4
	s_delay_alu instid0(VALU_DEP_1) | instskip(SKIP_1) | instid1(VALU_DEP_1)
	v_cvt_u32_f32_e32 v4, v4
	s_wait_alu 0xfffe
	v_mul_lo_u32 v5, s3, v4
	s_delay_alu instid0(VALU_DEP_1) | instskip(NEXT) | instid1(VALU_DEP_1)
	v_mul_hi_u32 v5, v4, v5
	v_add_nc_u32_e32 v4, v4, v5
	s_delay_alu instid0(VALU_DEP_1) | instskip(NEXT) | instid1(VALU_DEP_1)
	v_mul_hi_u32 v4, v2, v4
	v_mul_lo_u32 v5, v4, s24
	v_add_nc_u32_e32 v6, 1, v4
	s_delay_alu instid0(VALU_DEP_2) | instskip(NEXT) | instid1(VALU_DEP_1)
	v_sub_nc_u32_e32 v5, v2, v5
	v_subrev_nc_u32_e32 v7, s24, v5
	v_cmp_le_u32_e32 vcc_lo, s24, v5
	s_wait_alu 0xfffd
	s_delay_alu instid0(VALU_DEP_2) | instskip(NEXT) | instid1(VALU_DEP_1)
	v_dual_cndmask_b32 v5, v5, v7 :: v_dual_cndmask_b32 v4, v4, v6
	v_cmp_le_u32_e32 vcc_lo, s24, v5
	s_delay_alu instid0(VALU_DEP_2) | instskip(SKIP_1) | instid1(VALU_DEP_1)
	v_dual_mov_b32 v5, 0 :: v_dual_add_nc_u32 v6, 1, v4
	s_wait_alu 0xfffd
	v_cndmask_b32_e32 v4, v4, v6, vcc_lo
.LBB32_6:
	s_wait_alu 0xfffe
	s_or_b32 exec_lo, exec_lo, s2
	s_load_b512 s[4:19], s[0:1], 0x0
	v_mul_lo_u32 v7, v5, s24
	v_mul_lo_u32 v8, v4, s25
	v_mad_co_u64_u32 v[5:6], null, v4, s24, 0
	s_add_nc_u64 s[2:3], s[0:1], 0x68
	v_add3_u32 v6, v6, v8, v7
	v_sub_co_u32 v17, vcc_lo, v2, v5
	s_wait_alu 0xfffd
	s_delay_alu instid0(VALU_DEP_2) | instskip(SKIP_2) | instid1(VALU_DEP_2)
	v_sub_co_ci_u32_e64 v16, null, v3, v6, vcc_lo
	v_mov_b32_e32 v6, 0
	s_wait_kmcnt 0x0
	v_or_b32_e32 v7, s19, v16
	s_delay_alu instid0(VALU_DEP_1)
	v_cmp_ne_u64_e32 vcc_lo, 0, v[6:7]
                                        ; implicit-def: $vgpr6_vgpr7
	s_and_saveexec_b32 s0, vcc_lo
	s_wait_alu 0xfffe
	s_xor_b32 s1, exec_lo, s0
	s_cbranch_execz .LBB32_8
; %bb.7:
	s_ashr_i32 s24, s19, 31
	s_mov_b32 s39, 0
	s_wait_alu 0xfffe
	s_mov_b32 s25, s24
	v_ashrrev_i32_e32 v12, 31, v16
	s_wait_alu 0xfffe
	s_add_nc_u64 s[28:29], s[18:19], s[24:25]
	s_delay_alu instid0(SALU_CYCLE_1) | instskip(NEXT) | instid1(VALU_DEP_1)
	s_xor_b64 s[28:29], s[28:29], s[24:25]
	v_add_co_u32 v6, vcc_lo, v17, v12
	s_cvt_f32_u32 s0, s28
	s_cvt_f32_u32 s25, s29
	s_sub_nc_u64 s[34:35], 0, s[28:29]
	s_wait_alu 0xfffd
	v_add_co_ci_u32_e64 v7, null, v16, v12, vcc_lo
	s_wait_alu 0xfffe
	s_fmamk_f32 s0, s25, 0x4f800000, s0
	v_xor_b32_e32 v13, v6, v12
	s_delay_alu instid0(VALU_DEP_2) | instskip(SKIP_2) | instid1(TRANS32_DEP_1)
	v_xor_b32_e32 v14, v7, v12
	s_wait_alu 0xfffe
	v_s_rcp_f32 s0, s0
	s_mul_f32 s0, s0, 0x5f7ffffc
	s_wait_alu 0xfffe
	s_delay_alu instid0(SALU_CYCLE_2) | instskip(SKIP_1) | instid1(SALU_CYCLE_2)
	s_mul_f32 s25, s0, 0x2f800000
	s_wait_alu 0xfffe
	s_trunc_f32 s25, s25
	s_wait_alu 0xfffe
	s_delay_alu instid0(SALU_CYCLE_2) | instskip(SKIP_2) | instid1(SALU_CYCLE_1)
	s_fmamk_f32 s0, s25, 0xcf800000, s0
	s_cvt_u32_f32 s31, s25
	s_wait_alu 0xfffe
	s_cvt_u32_f32 s30, s0
	s_delay_alu instid0(SALU_CYCLE_3) | instskip(NEXT) | instid1(SALU_CYCLE_1)
	s_mul_u64 s[36:37], s[34:35], s[30:31]
	s_mul_hi_u32 s41, s30, s37
	s_mul_i32 s40, s30, s37
	s_mul_hi_u32 s38, s30, s36
	s_mul_i32 s25, s31, s36
	s_add_nc_u64 s[40:41], s[38:39], s[40:41]
	s_mul_hi_u32 s0, s31, s36
	s_mul_hi_u32 s42, s31, s37
	s_wait_alu 0xfffe
	s_add_co_u32 s25, s40, s25
	s_add_co_ci_u32 s38, s41, s0
	s_mul_i32 s36, s31, s37
	s_add_co_ci_u32 s37, s42, 0
	s_delay_alu instid0(SALU_CYCLE_1) | instskip(NEXT) | instid1(SALU_CYCLE_1)
	s_add_nc_u64 s[36:37], s[38:39], s[36:37]
	s_add_co_u32 s30, s30, s36
	s_cselect_b32 s0, -1, 0
	s_wait_alu 0xfffe
	s_cmp_lg_u32 s0, 0
	s_add_co_ci_u32 s31, s31, s37
	s_delay_alu instid0(SALU_CYCLE_1) | instskip(NEXT) | instid1(SALU_CYCLE_1)
	s_mul_u64 s[34:35], s[34:35], s[30:31]
	s_mul_hi_u32 s37, s30, s35
	s_mul_i32 s36, s30, s35
	s_mul_hi_u32 s38, s30, s34
	s_mul_i32 s25, s31, s34
	s_add_nc_u64 s[36:37], s[38:39], s[36:37]
	s_mul_hi_u32 s0, s31, s34
	s_mul_hi_u32 s40, s31, s35
	s_wait_alu 0xfffe
	s_add_co_u32 s25, s36, s25
	s_add_co_ci_u32 s38, s37, s0
	s_mul_i32 s34, s31, s35
	s_add_co_ci_u32 s35, s40, 0
	s_delay_alu instid0(SALU_CYCLE_1) | instskip(NEXT) | instid1(SALU_CYCLE_1)
	s_add_nc_u64 s[34:35], s[38:39], s[34:35]
	s_add_co_u32 s0, s30, s34
	s_cselect_b32 s25, -1, 0
	s_wait_alu 0xfffe
	v_mul_hi_u32 v15, v13, s0
	s_cmp_lg_u32 s25, 0
	v_mad_co_u64_u32 v[8:9], null, v14, s0, 0
	s_add_co_ci_u32 s25, s31, s35
	s_wait_alu 0xfffe
	v_mad_co_u64_u32 v[6:7], null, v13, s25, 0
	v_mad_co_u64_u32 v[10:11], null, v14, s25, 0
	s_delay_alu instid0(VALU_DEP_2) | instskip(SKIP_1) | instid1(VALU_DEP_3)
	v_add_co_u32 v6, vcc_lo, v15, v6
	s_wait_alu 0xfffd
	v_add_co_ci_u32_e64 v7, null, 0, v7, vcc_lo
	s_delay_alu instid0(VALU_DEP_2) | instskip(SKIP_1) | instid1(VALU_DEP_2)
	v_add_co_u32 v6, vcc_lo, v6, v8
	s_wait_alu 0xfffd
	v_add_co_ci_u32_e32 v6, vcc_lo, v7, v9, vcc_lo
	s_wait_alu 0xfffd
	v_add_co_ci_u32_e32 v7, vcc_lo, 0, v11, vcc_lo
	s_delay_alu instid0(VALU_DEP_2) | instskip(SKIP_1) | instid1(VALU_DEP_2)
	v_add_co_u32 v8, vcc_lo, v6, v10
	s_wait_alu 0xfffd
	v_add_co_ci_u32_e64 v9, null, 0, v7, vcc_lo
	s_delay_alu instid0(VALU_DEP_2) | instskip(SKIP_1) | instid1(VALU_DEP_3)
	v_mul_lo_u32 v10, s29, v8
	v_mad_co_u64_u32 v[6:7], null, s28, v8, 0
	v_mul_lo_u32 v11, s28, v9
	s_delay_alu instid0(VALU_DEP_2) | instskip(NEXT) | instid1(VALU_DEP_2)
	v_sub_co_u32 v6, vcc_lo, v13, v6
	v_add3_u32 v7, v7, v11, v10
	v_add_co_u32 v11, s0, v8, 2
	s_wait_alu 0xf1ff
	v_add_co_ci_u32_e64 v13, null, 0, v9, s0
	s_delay_alu instid0(VALU_DEP_3) | instskip(SKIP_3) | instid1(VALU_DEP_3)
	v_sub_nc_u32_e32 v10, v14, v7
	v_sub_co_u32 v15, s0, v6, s28
	s_wait_alu 0xfffd
	v_sub_co_ci_u32_e64 v7, null, v14, v7, vcc_lo
	v_subrev_co_ci_u32_e64 v10, null, s29, v10, vcc_lo
	s_delay_alu instid0(VALU_DEP_3) | instskip(SKIP_1) | instid1(VALU_DEP_2)
	v_cmp_le_u32_e32 vcc_lo, s28, v15
	s_wait_alu 0xf1ff
	v_subrev_co_ci_u32_e64 v10, null, 0, v10, s0
	s_wait_alu 0xfffd
	v_cndmask_b32_e64 v14, 0, -1, vcc_lo
	s_delay_alu instid0(VALU_DEP_2)
	v_cmp_le_u32_e32 vcc_lo, s29, v10
	s_wait_alu 0xfffd
	v_cndmask_b32_e64 v15, 0, -1, vcc_lo
	v_cmp_le_u32_e32 vcc_lo, s28, v6
	s_wait_alu 0xfffd
	v_cndmask_b32_e64 v6, 0, -1, vcc_lo
	;; [unrolled: 3-line block ×3, first 2 shown]
	v_cmp_eq_u32_e32 vcc_lo, s29, v10
	s_wait_alu 0xfffd
	v_cndmask_b32_e32 v10, v15, v14, vcc_lo
	v_add_co_u32 v14, vcc_lo, v8, 1
	s_wait_alu 0xfffd
	v_add_co_ci_u32_e64 v15, null, 0, v9, vcc_lo
	v_cmp_eq_u32_e32 vcc_lo, s29, v7
	s_wait_alu 0xfffd
	v_cndmask_b32_e32 v6, v18, v6, vcc_lo
	v_cmp_ne_u32_e32 vcc_lo, 0, v10
	v_xor_b32_e32 v10, s24, v12
	s_wait_alu 0xfffd
	v_cndmask_b32_e32 v7, v15, v13, vcc_lo
	v_cmp_ne_u32_e64 s0, 0, v6
	v_cndmask_b32_e32 v6, v14, v11, vcc_lo
	s_wait_alu 0xf1ff
	s_delay_alu instid0(VALU_DEP_2) | instskip(NEXT) | instid1(VALU_DEP_2)
	v_cndmask_b32_e64 v7, v9, v7, s0
	v_cndmask_b32_e64 v6, v8, v6, s0
	s_delay_alu instid0(VALU_DEP_2) | instskip(NEXT) | instid1(VALU_DEP_2)
	v_xor_b32_e32 v7, v7, v10
	v_xor_b32_e32 v6, v6, v10
	s_delay_alu instid0(VALU_DEP_1) | instskip(SKIP_1) | instid1(VALU_DEP_3)
	v_sub_co_u32 v6, vcc_lo, v6, v10
	s_wait_alu 0xfffd
	v_sub_co_ci_u32_e64 v7, null, v7, v10, vcc_lo
.LBB32_8:
	s_wait_alu 0xfffe
	s_or_saveexec_b32 s0, s1
	s_load_b32 s2, s[2:3], 0x0
	s_xor_b32 exec_lo, exec_lo, s0
	s_cbranch_execz .LBB32_10
; %bb.9:
	v_cvt_f32_u32_e32 v6, s18
	s_sub_co_i32 s1, 0, s18
	s_delay_alu instid0(VALU_DEP_1) | instskip(NEXT) | instid1(TRANS32_DEP_1)
	v_rcp_iflag_f32_e32 v6, v6
	v_mul_f32_e32 v6, 0x4f7ffffe, v6
	s_delay_alu instid0(VALU_DEP_1) | instskip(SKIP_1) | instid1(VALU_DEP_1)
	v_cvt_u32_f32_e32 v6, v6
	s_wait_alu 0xfffe
	v_mul_lo_u32 v7, s1, v6
	s_delay_alu instid0(VALU_DEP_1) | instskip(NEXT) | instid1(VALU_DEP_1)
	v_mul_hi_u32 v7, v6, v7
	v_add_nc_u32_e32 v6, v6, v7
	s_delay_alu instid0(VALU_DEP_1) | instskip(NEXT) | instid1(VALU_DEP_1)
	v_mul_hi_u32 v6, v17, v6
	v_mul_lo_u32 v7, v6, s18
	v_add_nc_u32_e32 v8, 1, v6
	s_delay_alu instid0(VALU_DEP_2) | instskip(NEXT) | instid1(VALU_DEP_1)
	v_sub_nc_u32_e32 v7, v17, v7
	v_subrev_nc_u32_e32 v9, s18, v7
	v_cmp_le_u32_e32 vcc_lo, s18, v7
	s_wait_alu 0xfffd
	s_delay_alu instid0(VALU_DEP_2) | instskip(NEXT) | instid1(VALU_DEP_1)
	v_dual_cndmask_b32 v7, v7, v9 :: v_dual_cndmask_b32 v6, v6, v8
	v_cmp_le_u32_e32 vcc_lo, s18, v7
	s_delay_alu instid0(VALU_DEP_2) | instskip(SKIP_1) | instid1(VALU_DEP_1)
	v_dual_mov_b32 v7, 0 :: v_dual_add_nc_u32 v8, 1, v6
	s_wait_alu 0xfffd
	v_cndmask_b32_e32 v6, v6, v8, vcc_lo
.LBB32_10:
	s_or_b32 exec_lo, exec_lo, s0
	v_lshlrev_b64_e32 v[8:9], 3, v[2:3]
	s_mov_b32 s24, 0x968915a9
	s_mov_b32 s28, 0x4222de17
	;; [unrolled: 1-line block ×5, first 2 shown]
	v_add_co_u32 v2, vcc_lo, s12, v8
	s_wait_alu 0xfffd
	v_add_co_ci_u32_e64 v3, null, s13, v9, vcc_lo
	s_mov_b32 s12, 0x55555555
	s_mov_b32 s13, 0x3fe55555
	;; [unrolled: 1-line block ×3, first 2 shown]
	global_load_b64 v[10:11], v[2:3], off
	v_add_f64_e64 v[2:3], s[14:15], -1.0
	s_mov_b32 s34, 0x47e6c9c2
	s_mov_b32 s35, 0x3fc110ef
	s_mov_b32 s36, 0xcfa74449
	s_mov_b32 s37, 0x3fc3b13b
	s_mov_b32 s38, 0x71bf3c30
	s_mov_b32 s39, 0x3fc745d1
	s_mov_b32 s40, 0x1c7792ce
	s_mov_b32 s41, 0x3fcc71c7
	s_mov_b32 s42, 0x924920da
	s_mov_b32 s43, 0x3fd24924
	s_mov_b32 s44, 0x9999999c
	s_mov_b32 s45, 0x3fd99999
	s_mov_b32 s47, 0xbfe55555
	s_wait_alu 0xfffe
	s_mov_b32 s46, s12
	s_mov_b32 s48, 0xd5df274d
	;; [unrolled: 1-line block ×33, first 2 shown]
	v_lshlrev_b64_e32 v[0:1], 3, v[0:1]
	s_wait_kmcnt 0x0
	s_mul_i32 s2, s2, s33
	s_wait_loadcnt 0x0
	v_cmp_neq_f64_e32 vcc_lo, 1.0, v[10:11]
	s_wait_alu 0xfffd
	v_cndmask_b32_e32 v13, 0x3ff00000, v3, vcc_lo
	v_cndmask_b32_e32 v12, 0, v2, vcc_lo
	s_delay_alu instid0(VALU_DEP_1) | instskip(SKIP_3) | instid1(VALU_DEP_1)
	v_cmp_neq_f64_e32 vcc_lo, 0, v[12:13]
	s_wait_alu 0xfffd
	v_cndmask_b32_e32 v15, 0x3ff00000, v11, vcc_lo
	v_cndmask_b32_e32 v14, 0, v10, vcc_lo
	v_frexp_mant_f64_e64 v[18:19], |v[14:15]|
	s_delay_alu instid0(VALU_DEP_1) | instskip(SKIP_2) | instid1(VALU_DEP_1)
	v_cmp_gt_f64_e32 vcc_lo, s[12:13], v[18:19]
	s_wait_alu 0xfffd
	v_cndmask_b32_e64 v20, 0, 1, vcc_lo
	v_ldexp_f64 v[18:19], v[18:19], v20
	s_delay_alu instid0(VALU_DEP_1) | instskip(SKIP_1) | instid1(VALU_DEP_2)
	v_add_f64_e32 v[20:21], 1.0, v[18:19]
	v_add_f64_e32 v[26:27], -1.0, v[18:19]
	v_rcp_f64_e32 v[22:23], v[20:21]
	v_add_f64_e32 v[28:29], -1.0, v[20:21]
	s_delay_alu instid0(VALU_DEP_1) | instskip(NEXT) | instid1(TRANS32_DEP_1)
	v_add_f64_e64 v[18:19], v[18:19], -v[28:29]
	v_fma_f64 v[24:25], -v[20:21], v[22:23], 1.0
	s_delay_alu instid0(VALU_DEP_1) | instskip(NEXT) | instid1(VALU_DEP_1)
	v_fma_f64 v[22:23], v[24:25], v[22:23], v[22:23]
	v_fma_f64 v[24:25], -v[20:21], v[22:23], 1.0
	s_delay_alu instid0(VALU_DEP_1) | instskip(NEXT) | instid1(VALU_DEP_1)
	v_fma_f64 v[22:23], v[24:25], v[22:23], v[22:23]
	v_mul_f64_e32 v[24:25], v[26:27], v[22:23]
	s_delay_alu instid0(VALU_DEP_1) | instskip(NEXT) | instid1(VALU_DEP_1)
	v_mul_f64_e32 v[30:31], v[20:21], v[24:25]
	v_fma_f64 v[20:21], v[24:25], v[20:21], -v[30:31]
	s_delay_alu instid0(VALU_DEP_1) | instskip(NEXT) | instid1(VALU_DEP_1)
	v_fma_f64 v[18:19], v[24:25], v[18:19], v[20:21]
	v_add_f64_e32 v[20:21], v[30:31], v[18:19]
	s_delay_alu instid0(VALU_DEP_1) | instskip(SKIP_1) | instid1(VALU_DEP_2)
	v_add_f64_e64 v[28:29], v[26:27], -v[20:21]
	v_add_f64_e64 v[30:31], v[20:21], -v[30:31]
	v_add_f64_e64 v[26:27], v[26:27], -v[28:29]
	s_delay_alu instid0(VALU_DEP_2) | instskip(NEXT) | instid1(VALU_DEP_2)
	v_add_f64_e64 v[18:19], v[30:31], -v[18:19]
	v_add_f64_e64 v[20:21], v[26:27], -v[20:21]
	s_delay_alu instid0(VALU_DEP_1) | instskip(NEXT) | instid1(VALU_DEP_1)
	v_add_f64_e32 v[18:19], v[18:19], v[20:21]
	v_add_f64_e32 v[18:19], v[28:29], v[18:19]
	s_delay_alu instid0(VALU_DEP_1) | instskip(NEXT) | instid1(VALU_DEP_1)
	v_mul_f64_e32 v[18:19], v[22:23], v[18:19]
	v_add_f64_e32 v[20:21], v[24:25], v[18:19]
	s_delay_alu instid0(VALU_DEP_1) | instskip(SKIP_1) | instid1(VALU_DEP_2)
	v_add_f64_e64 v[22:23], v[20:21], -v[24:25]
	v_mul_f64_e32 v[24:25], v[20:21], v[20:21]
	v_add_f64_e64 v[18:19], v[18:19], -v[22:23]
	s_delay_alu instid0(VALU_DEP_2) | instskip(NEXT) | instid1(VALU_DEP_2)
	v_fma_f64 v[22:23], v[20:21], v[20:21], -v[24:25]
	v_add_f64_e32 v[26:27], v[18:19], v[18:19]
	s_delay_alu instid0(VALU_DEP_1) | instskip(NEXT) | instid1(VALU_DEP_1)
	v_fma_f64 v[22:23], v[20:21], v[26:27], v[22:23]
	v_add_f64_e32 v[26:27], v[24:25], v[22:23]
	s_delay_alu instid0(VALU_DEP_1) | instskip(SKIP_2) | instid1(VALU_DEP_3)
	v_fma_f64 v[28:29], v[26:27], s[28:29], s[24:25]
	v_add_f64_e64 v[24:25], v[26:27], -v[24:25]
	v_mul_f64_e32 v[34:35], v[20:21], v[26:27]
	v_fma_f64 v[28:29], v[26:27], v[28:29], s[30:31]
	s_delay_alu instid0(VALU_DEP_3) | instskip(NEXT) | instid1(VALU_DEP_2)
	v_add_f64_e64 v[22:23], v[22:23], -v[24:25]
	v_fma_f64 v[28:29], v[26:27], v[28:29], s[34:35]
	s_delay_alu instid0(VALU_DEP_1) | instskip(NEXT) | instid1(VALU_DEP_1)
	v_fma_f64 v[28:29], v[26:27], v[28:29], s[36:37]
	v_fma_f64 v[28:29], v[26:27], v[28:29], s[38:39]
	s_delay_alu instid0(VALU_DEP_1) | instskip(NEXT) | instid1(VALU_DEP_1)
	v_fma_f64 v[28:29], v[26:27], v[28:29], s[40:41]
	;; [unrolled: 3-line block ×3, first 2 shown]
	v_mul_f64_e32 v[30:31], v[26:27], v[28:29]
	s_delay_alu instid0(VALU_DEP_1) | instskip(NEXT) | instid1(VALU_DEP_1)
	v_fma_f64 v[24:25], v[26:27], v[28:29], -v[30:31]
	v_fma_f64 v[24:25], v[22:23], v[28:29], v[24:25]
	s_delay_alu instid0(VALU_DEP_1) | instskip(NEXT) | instid1(VALU_DEP_1)
	v_add_f64_e32 v[28:29], v[30:31], v[24:25]
	v_add_f64_e32 v[32:33], s[12:13], v[28:29]
	v_add_f64_e64 v[30:31], v[28:29], -v[30:31]
	s_delay_alu instid0(VALU_DEP_2) | instskip(NEXT) | instid1(VALU_DEP_2)
	v_add_f64_e32 v[36:37], s[46:47], v[32:33]
	v_add_f64_e64 v[24:25], v[24:25], -v[30:31]
	v_fma_f64 v[30:31], v[26:27], v[20:21], -v[34:35]
	s_delay_alu instid0(VALU_DEP_3) | instskip(NEXT) | instid1(VALU_DEP_3)
	v_add_f64_e64 v[28:29], v[28:29], -v[36:37]
	v_add_f64_e32 v[24:25], s[48:49], v[24:25]
	s_delay_alu instid0(VALU_DEP_3) | instskip(SKIP_1) | instid1(VALU_DEP_3)
	v_fma_f64 v[26:27], v[26:27], v[18:19], v[30:31]
	v_ldexp_f64 v[18:19], v[18:19], 1
	v_add_f64_e32 v[24:25], v[24:25], v[28:29]
	s_delay_alu instid0(VALU_DEP_3) | instskip(SKIP_1) | instid1(VALU_DEP_3)
	v_fma_f64 v[22:23], v[22:23], v[20:21], v[26:27]
	v_ldexp_f64 v[20:21], v[20:21], 1
	v_add_f64_e32 v[26:27], v[32:33], v[24:25]
	s_delay_alu instid0(VALU_DEP_3) | instskip(NEXT) | instid1(VALU_DEP_2)
	v_add_f64_e32 v[28:29], v[34:35], v[22:23]
	v_add_f64_e64 v[30:31], v[32:33], -v[26:27]
	s_delay_alu instid0(VALU_DEP_2) | instskip(SKIP_1) | instid1(VALU_DEP_3)
	v_mul_f64_e32 v[32:33], v[28:29], v[26:27]
	v_add_f64_e64 v[34:35], v[28:29], -v[34:35]
	v_add_f64_e32 v[24:25], v[24:25], v[30:31]
	s_delay_alu instid0(VALU_DEP_3) | instskip(NEXT) | instid1(VALU_DEP_3)
	v_fma_f64 v[30:31], v[28:29], v[26:27], -v[32:33]
	v_add_f64_e64 v[22:23], v[22:23], -v[34:35]
	s_delay_alu instid0(VALU_DEP_2) | instskip(NEXT) | instid1(VALU_DEP_1)
	v_fma_f64 v[24:25], v[28:29], v[24:25], v[30:31]
	v_fma_f64 v[22:23], v[22:23], v[26:27], v[24:25]
	v_frexp_exp_i32_f64_e32 v26, v[14:15]
	s_delay_alu instid0(VALU_DEP_2) | instskip(NEXT) | instid1(VALU_DEP_2)
	v_add_f64_e32 v[24:25], v[32:33], v[22:23]
	v_subrev_co_ci_u32_e64 v26, null, 0, v26, vcc_lo
	s_delay_alu instid0(VALU_DEP_1) | instskip(NEXT) | instid1(VALU_DEP_3)
	v_cvt_f64_i32_e32 v[26:27], v26
	v_add_f64_e32 v[28:29], v[20:21], v[24:25]
	v_add_f64_e64 v[30:31], v[24:25], -v[32:33]
	s_delay_alu instid0(VALU_DEP_3) | instskip(NEXT) | instid1(VALU_DEP_3)
	v_mul_f64_e32 v[32:33], s[50:51], v[26:27]
	v_add_f64_e64 v[20:21], v[28:29], -v[20:21]
	s_delay_alu instid0(VALU_DEP_3) | instskip(NEXT) | instid1(VALU_DEP_3)
	v_add_f64_e64 v[22:23], v[22:23], -v[30:31]
	v_fma_f64 v[30:31], v[26:27], s[50:51], -v[32:33]
	s_delay_alu instid0(VALU_DEP_3) | instskip(NEXT) | instid1(VALU_DEP_3)
	v_add_f64_e64 v[20:21], v[24:25], -v[20:21]
	v_add_f64_e32 v[18:19], v[18:19], v[22:23]
	s_delay_alu instid0(VALU_DEP_3) | instskip(NEXT) | instid1(VALU_DEP_2)
	v_fma_f64 v[22:23], v[26:27], s[52:53], v[30:31]
	v_add_f64_e32 v[18:19], v[18:19], v[20:21]
	s_delay_alu instid0(VALU_DEP_2) | instskip(NEXT) | instid1(VALU_DEP_2)
	v_add_f64_e32 v[20:21], v[32:33], v[22:23]
	v_add_f64_e32 v[24:25], v[28:29], v[18:19]
	s_delay_alu instid0(VALU_DEP_2) | instskip(NEXT) | instid1(VALU_DEP_2)
	v_add_f64_e64 v[32:33], v[20:21], -v[32:33]
	v_add_f64_e32 v[26:27], v[20:21], v[24:25]
	v_add_f64_e64 v[28:29], v[24:25], -v[28:29]
	s_delay_alu instid0(VALU_DEP_3) | instskip(NEXT) | instid1(VALU_DEP_3)
	v_add_f64_e64 v[22:23], v[22:23], -v[32:33]
	v_add_f64_e64 v[30:31], v[26:27], -v[20:21]
	s_delay_alu instid0(VALU_DEP_3) | instskip(NEXT) | instid1(VALU_DEP_2)
	v_add_f64_e64 v[18:19], v[18:19], -v[28:29]
	v_add_f64_e64 v[34:35], v[26:27], -v[30:31]
	;; [unrolled: 1-line block ×3, first 2 shown]
	s_delay_alu instid0(VALU_DEP_3) | instskip(NEXT) | instid1(VALU_DEP_3)
	v_add_f64_e32 v[28:29], v[22:23], v[18:19]
	v_add_f64_e64 v[20:21], v[20:21], -v[34:35]
	s_delay_alu instid0(VALU_DEP_1) | instskip(NEXT) | instid1(VALU_DEP_3)
	v_add_f64_e32 v[20:21], v[24:25], v[20:21]
	v_add_f64_e64 v[24:25], v[28:29], -v[22:23]
	s_delay_alu instid0(VALU_DEP_2) | instskip(NEXT) | instid1(VALU_DEP_2)
	v_add_f64_e32 v[20:21], v[28:29], v[20:21]
	v_add_f64_e64 v[28:29], v[28:29], -v[24:25]
	v_add_f64_e64 v[18:19], v[18:19], -v[24:25]
	s_delay_alu instid0(VALU_DEP_3) | instskip(NEXT) | instid1(VALU_DEP_3)
	v_add_f64_e32 v[30:31], v[26:27], v[20:21]
	v_add_f64_e64 v[22:23], v[22:23], -v[28:29]
	s_delay_alu instid0(VALU_DEP_2) | instskip(NEXT) | instid1(VALU_DEP_2)
	v_add_f64_e64 v[24:25], v[30:31], -v[26:27]
	v_add_f64_e32 v[18:19], v[18:19], v[22:23]
	s_delay_alu instid0(VALU_DEP_2) | instskip(NEXT) | instid1(VALU_DEP_1)
	v_add_f64_e64 v[20:21], v[20:21], -v[24:25]
	v_add_f64_e32 v[18:19], v[18:19], v[20:21]
	s_delay_alu instid0(VALU_DEP_1) | instskip(NEXT) | instid1(VALU_DEP_1)
	v_add_f64_e32 v[20:21], v[30:31], v[18:19]
	v_add_f64_e64 v[22:23], v[20:21], -v[30:31]
	v_mul_f64_e32 v[24:25], v[12:13], v[20:21]
	s_delay_alu instid0(VALU_DEP_2) | instskip(NEXT) | instid1(VALU_DEP_2)
	v_add_f64_e64 v[18:19], v[18:19], -v[22:23]
	v_fma_f64 v[20:21], v[12:13], v[20:21], -v[24:25]
	v_cmp_class_f64_e64 vcc_lo, v[24:25], 0x204
	s_delay_alu instid0(VALU_DEP_2) | instskip(NEXT) | instid1(VALU_DEP_1)
	v_fma_f64 v[18:19], v[12:13], v[18:19], v[20:21]
	v_add_f64_e32 v[20:21], v[24:25], v[18:19]
	s_wait_alu 0xfffd
	s_delay_alu instid0(VALU_DEP_1) | instskip(SKIP_3) | instid1(VALU_DEP_3)
	v_dual_cndmask_b32 v23, v21, v25 :: v_dual_cndmask_b32 v22, v20, v24
	v_add_co_u32 v8, vcc_lo, s6, v8
	s_wait_alu 0xfffd
	v_add_co_ci_u32_e64 v9, null, s7, v9, vcc_lo
	v_mul_f64_e32 v[26:27], s[54:55], v[22:23]
	v_add_f64_e64 v[20:21], v[20:21], -v[24:25]
	v_cmp_nlt_f64_e64 s0, 0x40900000, v[22:23]
	global_load_b64 v[8:9], v[8:9], off
	v_cmp_neq_f64_e64 vcc_lo, 0x7ff00000, |v[22:23]|
	v_cmp_ngt_f64_e64 s1, 0xc090cc00, v[22:23]
	s_lshl_b64 s[6:7], s[20:21], 3
	v_rndne_f64_e32 v[26:27], v[26:27]
	v_add_f64_e64 v[18:19], v[18:19], -v[20:21]
	v_trunc_f64_e32 v[20:21], v[12:13]
	s_delay_alu instid0(VALU_DEP_3) | instskip(SKIP_2) | instid1(VALU_DEP_4)
	v_fma_f64 v[28:29], v[26:27], s[56:57], v[22:23]
	v_cvt_i32_f64_e32 v32, v[26:27]
	s_wait_alu 0xfffd
	v_dual_cndmask_b32 v19, 0, v19 :: v_dual_cndmask_b32 v18, 0, v18
	s_and_b32 vcc_lo, s1, s0
	v_cmp_lt_f64_e64 s3, |v[14:15]|, 1.0
	s_delay_alu instid0(VALU_DEP_4) | instskip(NEXT) | instid1(VALU_DEP_1)
	v_fma_f64 v[28:29], v[26:27], s[58:59], v[28:29]
	v_fma_f64 v[30:31], v[28:29], s[62:63], s[60:61]
	s_delay_alu instid0(VALU_DEP_1) | instskip(NEXT) | instid1(VALU_DEP_1)
	v_fma_f64 v[30:31], v[28:29], v[30:31], s[64:65]
	v_fma_f64 v[30:31], v[28:29], v[30:31], s[66:67]
	s_delay_alu instid0(VALU_DEP_1) | instskip(NEXT) | instid1(VALU_DEP_1)
	;; [unrolled: 3-line block ×5, first 2 shown]
	v_fma_f64 v[30:31], v[28:29], v[30:31], 1.0
	v_fma_f64 v[26:27], v[28:29], v[30:31], 1.0
	v_mul_lo_u32 v30, v7, s18
	v_mul_lo_u32 v28, v7, s20
	v_mul_lo_u32 v29, v6, s21
	s_delay_alu instid0(VALU_DEP_4) | instskip(SKIP_2) | instid1(VALU_DEP_3)
	v_ldexp_f64 v[24:25], v[26:27], v32
	v_mul_f64_e32 v[26:27], 0.5, v[12:13]
	v_mul_lo_u32 v32, v6, s19
	v_cndmask_b32_e64 v25, 0x7ff00000, v25, s0
	s_wait_alu 0xfffe
	s_delay_alu instid0(VALU_DEP_4) | instskip(NEXT) | instid1(VALU_DEP_4)
	v_cndmask_b32_e32 v24, 0, v24, vcc_lo
	v_trunc_f64_e32 v[22:23], v[26:27]
	v_cmp_eq_f64_e32 vcc_lo, v[20:21], v[12:13]
	v_cndmask_b32_e64 v25, 0, v25, s1
	s_delay_alu instid0(VALU_DEP_1)
	v_fma_f64 v[18:19], v[24:25], v[18:19], v[24:25]
	v_cmp_class_f64_e64 s1, v[24:25], 0x204
	v_cmp_neq_f64_e64 s0, v[22:23], v[26:27]
	v_ashrrev_i32_e32 v26, 31, v4
	v_mul_lo_u32 v27, v4, s27
	s_wait_alu 0xf1ff
	s_delay_alu instid0(VALU_DEP_4) | instskip(SKIP_3) | instid1(VALU_DEP_3)
	v_cndmask_b32_e64 v22, v18, v24, s1
	v_cndmask_b32_e64 v18, v19, v25, s1
	v_cmp_neq_f64_e64 s1, v[12:13], |v[12:13]|
	s_wait_alu 0xfffd
	v_cndmask_b32_e32 v25, 0, v22, vcc_lo
	s_and_b32 s0, vcc_lo, s0
	s_wait_alu 0xfffe
	v_cndmask_b32_e64 v20, 0x3ff00000, v15, s0
	v_cndmask_b32_e64 v34, 0, v15, s0
	v_cmp_class_f64_e64 s0, v[14:15], 0x204
	s_delay_alu instid0(VALU_DEP_3)
	v_bfi_b32 v23, 0x7fffffff, v18, v20
	v_mad_co_u64_u32 v[18:19], null, v4, s26, 0
	v_mad_co_u64_u32 v[20:21], null, v6, s20, 0
	s_xor_b32 s1, s1, s3
	v_cndmask_b32_e32 v24, 0x7ff80000, v23, vcc_lo
	s_wait_alu 0xfffe
	v_cndmask_b32_e64 v31, 0x7ff00000, 0, s1
	v_cmp_gt_f64_e64 s1, 0, v[12:13]
	v_cmp_gt_f64_e32 vcc_lo, 0, v[14:15]
	s_ashr_i32 s3, s2, 31
	v_add3_u32 v21, v21, v29, v28
	v_cndmask_b32_e64 v33, 0x7ff00000, 0, s1
	v_cmp_neq_f64_e64 s1, |v[14:15]|, 1.0
	s_wait_alu 0xfffd
	v_dual_cndmask_b32 v35, v22, v25 :: v_dual_cndmask_b32 v24, v23, v24
	v_cmp_class_f64_e64 vcc_lo, v[12:13], 0x204
	v_mad_co_u64_u32 v[22:23], null, v6, s18, 0
	v_bfi_b32 v33, 0x7fffffff, v33, v34
	v_mul_lo_u32 v34, v26, s26
	v_mul_lo_u32 v25, s20, v5
	;; [unrolled: 1-line block ×3, first 2 shown]
	v_add3_u32 v5, v23, v32, v30
	s_delay_alu instid0(VALU_DEP_4) | instskip(SKIP_1) | instid1(VALU_DEP_2)
	v_add3_u32 v19, v19, v27, v34
	v_mul_lo_u32 v27, v4, s23
	v_lshlrev_b64_e32 v[18:19], 3, v[18:19]
	s_wait_alu 0xf1ff
	v_cndmask_b32_e64 v31, 0x3ff00000, v31, s1
	v_sub_co_u32 v22, s1, v17, v22
	s_wait_alu 0xf1ff
	v_sub_co_ci_u32_e64 v23, null, v16, v5, s1
	v_lshlrev_b64_e32 v[16:17], 3, v[20:21]
	s_delay_alu instid0(VALU_DEP_3) | instskip(SKIP_1) | instid1(VALU_DEP_4)
	v_mad_co_u64_u32 v[5:6], null, v22, s16, v[6:7]
	v_mul_lo_u32 v7, v22, s17
	v_mul_lo_u32 v28, v23, s16
	s_wait_alu 0xfffd
	v_dual_cndmask_b32 v31, v24, v31 :: v_dual_mov_b32 v24, 0
	s_delay_alu instid0(VALU_DEP_4)
	v_mul_lo_u32 v29, v5, s21
	v_mad_co_u64_u32 v[20:21], null, v5, s20, 0
	v_add_co_u32 v5, s1, s8, v18
	s_wait_alu 0xf1ff
	v_add_co_ci_u32_e64 v18, null, s9, v19, s1
	v_add3_u32 v6, v28, v6, v7
	s_delay_alu instid0(VALU_DEP_3)
	v_add_co_u32 v7, s1, v5, v16
	v_cndmask_b32_e64 v28, v31, v33, s0
	s_or_b32 s0, s0, vcc_lo
	v_cmp_o_f64_e32 vcc_lo, v[14:15], v[12:13]
	v_add_co_ci_u32_e64 v18, null, v18, v17, s1
	v_add_co_u32 v5, s1, v7, s6
	s_wait_alu 0xfffe
	v_cndmask_b32_e64 v30, v35, 0, s0
	v_cmp_eq_f64_e64 s0, 0, v[10:11]
	v_cmp_lt_f64_e64 s6, s[14:15], 1.0
	v_mad_co_u64_u32 v[12:13], null, v4, s22, 0
	v_mul_lo_u32 v19, v6, s20
	v_mul_lo_u32 v4, v23, s20
	;; [unrolled: 1-line block ×3, first 2 shown]
	v_mad_co_u64_u32 v[16:17], null, v22, s20, 0
	v_ashrrev_i64 v[14:15], 29, v[24:25]
	v_add3_u32 v13, v13, v27, v26
	s_wait_alu 0xf1ff
	v_add_co_ci_u32_e64 v6, null, s7, v18, s1
	v_add3_u32 v21, v21, v29, v19
	v_add_co_u32 v10, s1, v7, v0
	v_lshlrev_b64_e32 v[12:13], 3, v[12:13]
	v_add3_u32 v17, v17, v23, v4
	s_wait_alu 0xf1ff
	v_add_co_ci_u32_e64 v11, null, v18, v1, s1
	v_add_co_u32 v19, s1, s4, v14
	s_wait_alu 0xf1ff
	v_add_co_ci_u32_e64 v22, null, s5, v15, s1
	v_lshlrev_b64_e32 v[14:15], 3, v[20:21]
	v_add_co_u32 v20, s1, s10, v12
	s_wait_alu 0xf1ff
	v_add_co_ci_u32_e64 v21, null, s11, v13, s1
	v_lshlrev_b64_e32 v[12:13], 3, v[16:17]
	s_delay_alu instid0(VALU_DEP_4)
	v_add_co_u32 v4, s1, v19, v14
	s_wait_alu 0xf1ff
	v_add_co_ci_u32_e64 v19, null, v22, v15, s1
	s_mov_b32 s7, 0
	v_add_co_u32 v20, s1, v20, v12
	s_wait_alu 0xf1ff
	v_add_co_ci_u32_e64 v21, null, v21, v13, s1
	s_wait_alu 0xfffd
	v_cndmask_b32_e32 v12, 0, v30, vcc_lo
	v_cndmask_b32_e32 v13, 0x7ff80000, v28, vcc_lo
	s_lshl_b64 s[4:5], s[2:3], 3
	s_branch .LBB32_12
.LBB32_11:                              ;   in Loop: Header=BB32_12 Depth=1
	s_wait_alu 0xfffe
	s_or_b32 exec_lo, exec_lo, s8
	v_add_co_u32 v10, vcc_lo, v10, s4
	s_wait_alu 0xfffd
	v_add_co_ci_u32_e64 v11, null, s5, v11, vcc_lo
	v_add_co_u32 v14, vcc_lo, v4, v0
	s_wait_alu 0xfffd
	v_add_co_ci_u32_e64 v15, null, v19, v1, vcc_lo
	s_delay_alu instid0(VALU_DEP_3)
	v_cmp_ge_u64_e32 vcc_lo, v[10:11], v[5:6]
	v_add_co_u32 v0, s1, v0, s4
	s_wait_alu 0xf1ff
	v_add_co_ci_u32_e64 v1, null, s5, v1, s1
	global_store_b64 v[14:15], v[16:17], off
	s_or_b32 s7, vcc_lo, s7
	s_wait_alu 0xfffe
	s_and_not1_b32 exec_lo, exec_lo, s7
	s_cbranch_execz .LBB32_14
.LBB32_12:                              ; =>This Inner Loop Header: Depth=1
	v_add_co_u32 v14, vcc_lo, v7, v0
	s_wait_alu 0xfffd
	v_add_co_ci_u32_e64 v15, null, v18, v1, vcc_lo
	v_add_co_u32 v16, vcc_lo, v20, v0
	s_wait_alu 0xfffd
	v_add_co_ci_u32_e64 v17, null, v21, v1, vcc_lo
	global_load_b64 v[14:15], v[14:15], off
	global_load_b64 v[16:17], v[16:17], off
	s_wait_loadcnt 0x0
	v_add_f64_e64 v[14:15], v[14:15], -v[16:17]
	v_mov_b32_e32 v16, 0
	v_mov_b32_e32 v17, 0
	s_delay_alu instid0(VALU_DEP_3)
	v_cmp_eq_f64_e32 vcc_lo, 0, v[14:15]
	s_and_b32 s1, s6, vcc_lo
	s_wait_alu 0xfffe
	s_nor_b32 s1, s0, s1
	s_wait_alu 0xfffe
	s_and_saveexec_b32 s8, s1
	s_cbranch_execz .LBB32_11
; %bb.13:                               ;   in Loop: Header=BB32_12 Depth=1
	v_cmp_neq_f64_e64 vcc_lo, |v[14:15]|, 1.0
	s_mov_b32 s46, s12
	s_mov_b32 s56, s50
	;; [unrolled: 1-line block ×3, first 2 shown]
	v_cmp_lt_f64_e64 s3, 0, v[14:15]
	s_wait_alu 0xfffd
	v_cndmask_b32_e32 v17, 0x3ff00000, v3, vcc_lo
	v_cndmask_b32_e32 v16, 0, v2, vcc_lo
	s_delay_alu instid0(VALU_DEP_1) | instskip(SKIP_3) | instid1(VALU_DEP_1)
	v_cmp_neq_f64_e32 vcc_lo, 0, v[16:17]
	s_wait_alu 0xfffd
	v_cndmask_b32_e32 v23, 0x3ff00000, v15, vcc_lo
	v_cndmask_b32_e32 v22, 0, v14, vcc_lo
	v_frexp_mant_f64_e64 v[24:25], |v[22:23]|
	s_delay_alu instid0(VALU_DEP_1) | instskip(SKIP_2) | instid1(VALU_DEP_1)
	v_cmp_gt_f64_e32 vcc_lo, s[12:13], v[24:25]
	s_wait_alu 0xfffd
	v_cndmask_b32_e64 v26, 0, 1, vcc_lo
	v_ldexp_f64 v[24:25], v[24:25], v26
	s_delay_alu instid0(VALU_DEP_1) | instskip(SKIP_1) | instid1(VALU_DEP_2)
	v_add_f64_e32 v[26:27], 1.0, v[24:25]
	v_add_f64_e32 v[32:33], -1.0, v[24:25]
	v_rcp_f64_e32 v[28:29], v[26:27]
	v_add_f64_e32 v[34:35], -1.0, v[26:27]
	s_delay_alu instid0(VALU_DEP_1) | instskip(NEXT) | instid1(TRANS32_DEP_1)
	v_add_f64_e64 v[24:25], v[24:25], -v[34:35]
	v_fma_f64 v[30:31], -v[26:27], v[28:29], 1.0
	s_delay_alu instid0(VALU_DEP_1) | instskip(NEXT) | instid1(VALU_DEP_1)
	v_fma_f64 v[28:29], v[30:31], v[28:29], v[28:29]
	v_fma_f64 v[30:31], -v[26:27], v[28:29], 1.0
	s_delay_alu instid0(VALU_DEP_1) | instskip(NEXT) | instid1(VALU_DEP_1)
	v_fma_f64 v[28:29], v[30:31], v[28:29], v[28:29]
	v_mul_f64_e32 v[30:31], v[32:33], v[28:29]
	s_delay_alu instid0(VALU_DEP_1) | instskip(NEXT) | instid1(VALU_DEP_1)
	v_mul_f64_e32 v[36:37], v[26:27], v[30:31]
	v_fma_f64 v[26:27], v[30:31], v[26:27], -v[36:37]
	s_delay_alu instid0(VALU_DEP_1) | instskip(NEXT) | instid1(VALU_DEP_1)
	v_fma_f64 v[24:25], v[30:31], v[24:25], v[26:27]
	v_add_f64_e32 v[26:27], v[36:37], v[24:25]
	s_delay_alu instid0(VALU_DEP_1) | instskip(SKIP_1) | instid1(VALU_DEP_2)
	v_add_f64_e64 v[34:35], v[32:33], -v[26:27]
	v_add_f64_e64 v[36:37], v[26:27], -v[36:37]
	;; [unrolled: 1-line block ×3, first 2 shown]
	s_delay_alu instid0(VALU_DEP_2) | instskip(NEXT) | instid1(VALU_DEP_2)
	v_add_f64_e64 v[24:25], v[36:37], -v[24:25]
	v_add_f64_e64 v[26:27], v[32:33], -v[26:27]
	s_delay_alu instid0(VALU_DEP_1) | instskip(NEXT) | instid1(VALU_DEP_1)
	v_add_f64_e32 v[24:25], v[24:25], v[26:27]
	v_add_f64_e32 v[24:25], v[34:35], v[24:25]
	s_delay_alu instid0(VALU_DEP_1) | instskip(NEXT) | instid1(VALU_DEP_1)
	v_mul_f64_e32 v[24:25], v[28:29], v[24:25]
	v_add_f64_e32 v[26:27], v[30:31], v[24:25]
	s_delay_alu instid0(VALU_DEP_1) | instskip(SKIP_1) | instid1(VALU_DEP_2)
	v_add_f64_e64 v[28:29], v[26:27], -v[30:31]
	v_mul_f64_e32 v[30:31], v[26:27], v[26:27]
	v_add_f64_e64 v[24:25], v[24:25], -v[28:29]
	s_delay_alu instid0(VALU_DEP_2) | instskip(NEXT) | instid1(VALU_DEP_2)
	v_fma_f64 v[28:29], v[26:27], v[26:27], -v[30:31]
	v_add_f64_e32 v[32:33], v[24:25], v[24:25]
	s_delay_alu instid0(VALU_DEP_1) | instskip(NEXT) | instid1(VALU_DEP_1)
	v_fma_f64 v[28:29], v[26:27], v[32:33], v[28:29]
	v_add_f64_e32 v[32:33], v[30:31], v[28:29]
	s_delay_alu instid0(VALU_DEP_1) | instskip(SKIP_2) | instid1(VALU_DEP_3)
	v_fma_f64 v[34:35], v[32:33], s[28:29], s[24:25]
	v_add_f64_e64 v[30:31], v[32:33], -v[30:31]
	v_mul_f64_e32 v[40:41], v[26:27], v[32:33]
	v_fma_f64 v[34:35], v[32:33], v[34:35], s[30:31]
	s_delay_alu instid0(VALU_DEP_3) | instskip(NEXT) | instid1(VALU_DEP_2)
	v_add_f64_e64 v[28:29], v[28:29], -v[30:31]
	v_fma_f64 v[34:35], v[32:33], v[34:35], s[34:35]
	s_delay_alu instid0(VALU_DEP_1) | instskip(NEXT) | instid1(VALU_DEP_1)
	v_fma_f64 v[34:35], v[32:33], v[34:35], s[36:37]
	v_fma_f64 v[34:35], v[32:33], v[34:35], s[38:39]
	s_delay_alu instid0(VALU_DEP_1) | instskip(NEXT) | instid1(VALU_DEP_1)
	v_fma_f64 v[34:35], v[32:33], v[34:35], s[40:41]
	;; [unrolled: 3-line block ×3, first 2 shown]
	v_mul_f64_e32 v[36:37], v[32:33], v[34:35]
	s_delay_alu instid0(VALU_DEP_1) | instskip(NEXT) | instid1(VALU_DEP_1)
	v_fma_f64 v[30:31], v[32:33], v[34:35], -v[36:37]
	v_fma_f64 v[30:31], v[28:29], v[34:35], v[30:31]
	s_delay_alu instid0(VALU_DEP_1) | instskip(NEXT) | instid1(VALU_DEP_1)
	v_add_f64_e32 v[34:35], v[36:37], v[30:31]
	v_add_f64_e32 v[38:39], s[12:13], v[34:35]
	v_add_f64_e64 v[36:37], v[34:35], -v[36:37]
	s_wait_alu 0xfffe
	s_delay_alu instid0(VALU_DEP_2) | instskip(NEXT) | instid1(VALU_DEP_2)
	v_add_f64_e32 v[42:43], s[46:47], v[38:39]
	v_add_f64_e64 v[30:31], v[30:31], -v[36:37]
	v_fma_f64 v[36:37], v[32:33], v[26:27], -v[40:41]
	s_delay_alu instid0(VALU_DEP_3) | instskip(NEXT) | instid1(VALU_DEP_3)
	v_add_f64_e64 v[34:35], v[34:35], -v[42:43]
	v_add_f64_e32 v[30:31], s[48:49], v[30:31]
	s_delay_alu instid0(VALU_DEP_3) | instskip(SKIP_1) | instid1(VALU_DEP_3)
	v_fma_f64 v[32:33], v[32:33], v[24:25], v[36:37]
	v_ldexp_f64 v[24:25], v[24:25], 1
	v_add_f64_e32 v[30:31], v[30:31], v[34:35]
	s_delay_alu instid0(VALU_DEP_3) | instskip(SKIP_1) | instid1(VALU_DEP_3)
	v_fma_f64 v[28:29], v[28:29], v[26:27], v[32:33]
	v_ldexp_f64 v[26:27], v[26:27], 1
	v_add_f64_e32 v[32:33], v[38:39], v[30:31]
	s_delay_alu instid0(VALU_DEP_3) | instskip(NEXT) | instid1(VALU_DEP_2)
	v_add_f64_e32 v[34:35], v[40:41], v[28:29]
	v_add_f64_e64 v[36:37], v[38:39], -v[32:33]
	s_delay_alu instid0(VALU_DEP_2) | instskip(SKIP_1) | instid1(VALU_DEP_3)
	v_mul_f64_e32 v[38:39], v[34:35], v[32:33]
	v_add_f64_e64 v[40:41], v[34:35], -v[40:41]
	v_add_f64_e32 v[30:31], v[30:31], v[36:37]
	s_delay_alu instid0(VALU_DEP_3) | instskip(NEXT) | instid1(VALU_DEP_3)
	v_fma_f64 v[36:37], v[34:35], v[32:33], -v[38:39]
	v_add_f64_e64 v[28:29], v[28:29], -v[40:41]
	s_delay_alu instid0(VALU_DEP_2) | instskip(NEXT) | instid1(VALU_DEP_1)
	v_fma_f64 v[30:31], v[34:35], v[30:31], v[36:37]
	v_fma_f64 v[28:29], v[28:29], v[32:33], v[30:31]
	v_frexp_exp_i32_f64_e32 v32, v[22:23]
	s_delay_alu instid0(VALU_DEP_2) | instskip(NEXT) | instid1(VALU_DEP_2)
	v_add_f64_e32 v[30:31], v[38:39], v[28:29]
	v_subrev_co_ci_u32_e64 v32, null, 0, v32, vcc_lo
	s_delay_alu instid0(VALU_DEP_1) | instskip(NEXT) | instid1(VALU_DEP_3)
	v_cvt_f64_i32_e32 v[32:33], v32
	v_add_f64_e32 v[34:35], v[26:27], v[30:31]
	v_add_f64_e64 v[36:37], v[30:31], -v[38:39]
	s_delay_alu instid0(VALU_DEP_3) | instskip(NEXT) | instid1(VALU_DEP_3)
	v_mul_f64_e32 v[38:39], s[50:51], v[32:33]
	v_add_f64_e64 v[26:27], v[34:35], -v[26:27]
	s_delay_alu instid0(VALU_DEP_3) | instskip(NEXT) | instid1(VALU_DEP_3)
	v_add_f64_e64 v[28:29], v[28:29], -v[36:37]
	v_fma_f64 v[36:37], v[32:33], s[50:51], -v[38:39]
	s_delay_alu instid0(VALU_DEP_3) | instskip(NEXT) | instid1(VALU_DEP_3)
	v_add_f64_e64 v[26:27], v[30:31], -v[26:27]
	v_add_f64_e32 v[24:25], v[24:25], v[28:29]
	s_delay_alu instid0(VALU_DEP_3) | instskip(NEXT) | instid1(VALU_DEP_2)
	v_fma_f64 v[28:29], v[32:33], s[52:53], v[36:37]
	v_add_f64_e32 v[24:25], v[24:25], v[26:27]
	s_delay_alu instid0(VALU_DEP_2) | instskip(NEXT) | instid1(VALU_DEP_2)
	v_add_f64_e32 v[26:27], v[38:39], v[28:29]
	v_add_f64_e32 v[30:31], v[34:35], v[24:25]
	s_delay_alu instid0(VALU_DEP_2) | instskip(NEXT) | instid1(VALU_DEP_2)
	v_add_f64_e64 v[38:39], v[26:27], -v[38:39]
	v_add_f64_e32 v[32:33], v[26:27], v[30:31]
	v_add_f64_e64 v[34:35], v[30:31], -v[34:35]
	s_delay_alu instid0(VALU_DEP_3) | instskip(NEXT) | instid1(VALU_DEP_3)
	v_add_f64_e64 v[28:29], v[28:29], -v[38:39]
	v_add_f64_e64 v[36:37], v[32:33], -v[26:27]
	s_delay_alu instid0(VALU_DEP_3) | instskip(NEXT) | instid1(VALU_DEP_2)
	v_add_f64_e64 v[24:25], v[24:25], -v[34:35]
	v_add_f64_e64 v[40:41], v[32:33], -v[36:37]
	;; [unrolled: 1-line block ×3, first 2 shown]
	s_delay_alu instid0(VALU_DEP_3) | instskip(NEXT) | instid1(VALU_DEP_3)
	v_add_f64_e32 v[34:35], v[28:29], v[24:25]
	v_add_f64_e64 v[26:27], v[26:27], -v[40:41]
	s_delay_alu instid0(VALU_DEP_1) | instskip(NEXT) | instid1(VALU_DEP_3)
	v_add_f64_e32 v[26:27], v[30:31], v[26:27]
	v_add_f64_e64 v[30:31], v[34:35], -v[28:29]
	s_delay_alu instid0(VALU_DEP_2) | instskip(NEXT) | instid1(VALU_DEP_2)
	v_add_f64_e32 v[26:27], v[34:35], v[26:27]
	v_add_f64_e64 v[34:35], v[34:35], -v[30:31]
	v_add_f64_e64 v[24:25], v[24:25], -v[30:31]
	s_delay_alu instid0(VALU_DEP_3) | instskip(NEXT) | instid1(VALU_DEP_3)
	v_add_f64_e32 v[36:37], v[32:33], v[26:27]
	v_add_f64_e64 v[28:29], v[28:29], -v[34:35]
	s_delay_alu instid0(VALU_DEP_2) | instskip(NEXT) | instid1(VALU_DEP_2)
	v_add_f64_e64 v[30:31], v[36:37], -v[32:33]
	v_add_f64_e32 v[24:25], v[24:25], v[28:29]
	s_delay_alu instid0(VALU_DEP_2) | instskip(NEXT) | instid1(VALU_DEP_1)
	v_add_f64_e64 v[26:27], v[26:27], -v[30:31]
	v_add_f64_e32 v[24:25], v[24:25], v[26:27]
	s_delay_alu instid0(VALU_DEP_1) | instskip(NEXT) | instid1(VALU_DEP_1)
	v_add_f64_e32 v[26:27], v[36:37], v[24:25]
	v_add_f64_e64 v[28:29], v[26:27], -v[36:37]
	v_mul_f64_e32 v[30:31], v[16:17], v[26:27]
	s_delay_alu instid0(VALU_DEP_2) | instskip(NEXT) | instid1(VALU_DEP_2)
	v_add_f64_e64 v[24:25], v[24:25], -v[28:29]
	v_fma_f64 v[26:27], v[16:17], v[26:27], -v[30:31]
	v_cmp_class_f64_e64 vcc_lo, v[30:31], 0x204
	s_delay_alu instid0(VALU_DEP_2) | instskip(NEXT) | instid1(VALU_DEP_1)
	v_fma_f64 v[24:25], v[16:17], v[24:25], v[26:27]
	v_add_f64_e32 v[26:27], v[30:31], v[24:25]
	s_wait_alu 0xfffd
	s_delay_alu instid0(VALU_DEP_1) | instskip(SKIP_1) | instid1(VALU_DEP_2)
	v_dual_cndmask_b32 v29, v27, v31 :: v_dual_cndmask_b32 v28, v26, v30
	v_add_f64_e64 v[26:27], v[26:27], -v[30:31]
	v_mul_f64_e32 v[32:33], s[54:55], v[28:29]
	v_cmp_nlt_f64_e64 s1, 0x40900000, v[28:29]
	v_cmp_neq_f64_e64 vcc_lo, 0x7ff00000, |v[28:29]|
	v_cmp_ngt_f64_e64 s2, 0xc090cc00, v[28:29]
	v_add_f64_e64 v[24:25], v[24:25], -v[26:27]
	v_rndne_f64_e32 v[32:33], v[32:33]
	s_wait_alu 0xfffd
	s_delay_alu instid0(VALU_DEP_2) | instskip(SKIP_2) | instid1(VALU_DEP_3)
	v_dual_cndmask_b32 v25, 0, v25 :: v_dual_cndmask_b32 v24, 0, v24
	s_and_b32 vcc_lo, s2, s1
	v_cmp_eq_f64_e64 s9, |v[22:23]|, 0
	v_fma_f64 v[34:35], v[32:33], s[56:57], v[28:29]
	v_cvt_i32_f64_e32 v38, v[32:33]
	v_cmp_class_f64_e64 s10, v[22:23], 0x204
	s_delay_alu instid0(VALU_DEP_3) | instskip(NEXT) | instid1(VALU_DEP_1)
	v_fma_f64 v[34:35], v[32:33], s[58:59], v[34:35]
	v_fma_f64 v[36:37], v[34:35], s[62:63], s[60:61]
	s_delay_alu instid0(VALU_DEP_1) | instskip(NEXT) | instid1(VALU_DEP_1)
	v_fma_f64 v[36:37], v[34:35], v[36:37], s[64:65]
	v_fma_f64 v[36:37], v[34:35], v[36:37], s[66:67]
	s_delay_alu instid0(VALU_DEP_1) | instskip(NEXT) | instid1(VALU_DEP_1)
	;; [unrolled: 3-line block ×5, first 2 shown]
	v_fma_f64 v[36:37], v[34:35], v[36:37], 1.0
	v_fma_f64 v[32:33], v[34:35], v[36:37], 1.0
	s_delay_alu instid0(VALU_DEP_1) | instskip(NEXT) | instid1(VALU_DEP_1)
	v_ldexp_f64 v[30:31], v[32:33], v38
	v_cndmask_b32_e64 v26, 0x7ff00000, v31, s1
	v_cmp_neq_f64_e64 s1, v[16:17], |v[16:17]|
	s_delay_alu instid0(VALU_DEP_2) | instskip(SKIP_4) | instid1(VALU_DEP_2)
	v_cndmask_b32_e64 v27, 0, v26, s2
	v_cmp_lt_f64_e64 s2, |v[22:23]|, 1.0
	s_wait_alu 0xfffe
	v_cndmask_b32_e32 v26, 0, v30, vcc_lo
	v_cmp_gt_f64_e32 vcc_lo, 0, v[16:17]
	v_fma_f64 v[24:25], v[26:27], v[24:25], v[26:27]
	s_xor_b32 s1, s1, s2
	v_cmp_neq_f64_e64 s2, |v[22:23]|, 1.0
	s_wait_alu 0xfffe
	v_cndmask_b32_e64 v28, 0x7ff00000, 0, s1
	v_cmp_class_f64_e64 s1, v[26:27], 0x204
	s_wait_alu 0xf1ff
	s_delay_alu instid0(VALU_DEP_1) | instskip(NEXT) | instid1(VALU_DEP_3)
	v_cndmask_b32_e64 v25, v25, v27, s1
	v_cndmask_b32_e64 v27, 0x3ff00000, v28, s2
	v_cmp_class_f64_e64 s2, v[16:17], 0x204
	v_cndmask_b32_e64 v28, 0, 1, s3
	s_xor_b32 s3, vcc_lo, s9
	v_cmp_gt_f64_e32 vcc_lo, 0, v[14:15]
	v_and_b32_e32 v25, 0x7fffffff, v25
	s_wait_alu 0xfffe
	v_cndmask_b32_e64 v29, 0x7ff00000, 0, s3
	v_cndmask_b32_e64 v24, v24, v26, s1
	s_delay_alu instid0(VALU_DEP_3)
	v_cndmask_b32_e64 v25, v25, v27, s2
	s_wait_alu 0xfffd
	v_subrev_co_ci_u32_e64 v14, null, 0, v28, vcc_lo
	s_or_b32 vcc_lo, s9, s10
	s_wait_alu 0xfffe
	v_cndmask_b32_e32 v25, v25, v29, vcc_lo
	s_or_b32 s1, vcc_lo, s2
	v_cmp_o_f64_e64 vcc_lo, |v[22:23]|, v[16:17]
	v_cvt_f64_i32_e32 v[14:15], v14
	s_wait_alu 0xfffe
	v_cndmask_b32_e64 v24, v24, 0, s1
	s_wait_alu 0xfffd
	s_delay_alu instid0(VALU_DEP_1) | instskip(SKIP_1) | instid1(VALU_DEP_1)
	v_cndmask_b32_e32 v16, 0, v24, vcc_lo
	v_cndmask_b32_e32 v17, 0x7ff80000, v25, vcc_lo
	v_mul_f64_e32 v[14:15], v[16:17], v[14:15]
	s_delay_alu instid0(VALU_DEP_1) | instskip(NEXT) | instid1(VALU_DEP_1)
	v_mul_f64_e32 v[14:15], v[8:9], v[14:15]
	v_div_scale_f64 v[16:17], null, v[12:13], v[12:13], v[14:15]
	s_delay_alu instid0(VALU_DEP_1) | instskip(NEXT) | instid1(TRANS32_DEP_1)
	v_rcp_f64_e32 v[22:23], v[16:17]
	v_fma_f64 v[24:25], -v[16:17], v[22:23], 1.0
	s_delay_alu instid0(VALU_DEP_1) | instskip(NEXT) | instid1(VALU_DEP_1)
	v_fma_f64 v[22:23], v[22:23], v[24:25], v[22:23]
	v_fma_f64 v[24:25], -v[16:17], v[22:23], 1.0
	s_delay_alu instid0(VALU_DEP_1) | instskip(SKIP_1) | instid1(VALU_DEP_1)
	v_fma_f64 v[22:23], v[22:23], v[24:25], v[22:23]
	v_div_scale_f64 v[24:25], vcc_lo, v[14:15], v[12:13], v[14:15]
	v_mul_f64_e32 v[26:27], v[24:25], v[22:23]
	s_delay_alu instid0(VALU_DEP_1) | instskip(SKIP_1) | instid1(VALU_DEP_1)
	v_fma_f64 v[16:17], -v[16:17], v[26:27], v[24:25]
	s_wait_alu 0xfffd
	v_div_fmas_f64 v[16:17], v[16:17], v[22:23], v[26:27]
	s_delay_alu instid0(VALU_DEP_1)
	v_div_fixup_f64 v[16:17], v[16:17], v[12:13], v[14:15]
	s_branch .LBB32_11
.LBB32_14:
	s_endpgm
	.section	.rodata,"a",@progbits
	.p2align	6, 0x0
	.amdhsa_kernel _ZN2at6native12_GLOBAL__N_131cdist_backward_kernel_cuda_implIdNS1_5distsIdE6lt_twoEEEvPT_PKS6_S9_S9_S9_S6_lllllll
		.amdhsa_group_segment_fixed_size 0
		.amdhsa_private_segment_fixed_size 0
		.amdhsa_kernarg_size 360
		.amdhsa_user_sgpr_count 2
		.amdhsa_user_sgpr_dispatch_ptr 0
		.amdhsa_user_sgpr_queue_ptr 0
		.amdhsa_user_sgpr_kernarg_segment_ptr 1
		.amdhsa_user_sgpr_dispatch_id 0
		.amdhsa_user_sgpr_private_segment_size 0
		.amdhsa_wavefront_size32 1
		.amdhsa_uses_dynamic_stack 0
		.amdhsa_enable_private_segment 0
		.amdhsa_system_sgpr_workgroup_id_x 1
		.amdhsa_system_sgpr_workgroup_id_y 1
		.amdhsa_system_sgpr_workgroup_id_z 1
		.amdhsa_system_sgpr_workgroup_info 0
		.amdhsa_system_vgpr_workitem_id 1
		.amdhsa_next_free_vgpr 44
		.amdhsa_next_free_sgpr 80
		.amdhsa_reserve_vcc 1
		.amdhsa_float_round_mode_32 0
		.amdhsa_float_round_mode_16_64 0
		.amdhsa_float_denorm_mode_32 3
		.amdhsa_float_denorm_mode_16_64 3
		.amdhsa_fp16_overflow 0
		.amdhsa_workgroup_processor_mode 1
		.amdhsa_memory_ordered 1
		.amdhsa_forward_progress 1
		.amdhsa_inst_pref_size 52
		.amdhsa_round_robin_scheduling 0
		.amdhsa_exception_fp_ieee_invalid_op 0
		.amdhsa_exception_fp_denorm_src 0
		.amdhsa_exception_fp_ieee_div_zero 0
		.amdhsa_exception_fp_ieee_overflow 0
		.amdhsa_exception_fp_ieee_underflow 0
		.amdhsa_exception_fp_ieee_inexact 0
		.amdhsa_exception_int_div_zero 0
	.end_amdhsa_kernel
	.section	.text._ZN2at6native12_GLOBAL__N_131cdist_backward_kernel_cuda_implIdNS1_5distsIdE6lt_twoEEEvPT_PKS6_S9_S9_S9_S6_lllllll,"axG",@progbits,_ZN2at6native12_GLOBAL__N_131cdist_backward_kernel_cuda_implIdNS1_5distsIdE6lt_twoEEEvPT_PKS6_S9_S9_S9_S6_lllllll,comdat
.Lfunc_end32:
	.size	_ZN2at6native12_GLOBAL__N_131cdist_backward_kernel_cuda_implIdNS1_5distsIdE6lt_twoEEEvPT_PKS6_S9_S9_S9_S6_lllllll, .Lfunc_end32-_ZN2at6native12_GLOBAL__N_131cdist_backward_kernel_cuda_implIdNS1_5distsIdE6lt_twoEEEvPT_PKS6_S9_S9_S9_S6_lllllll
                                        ; -- End function
	.set _ZN2at6native12_GLOBAL__N_131cdist_backward_kernel_cuda_implIdNS1_5distsIdE6lt_twoEEEvPT_PKS6_S9_S9_S9_S6_lllllll.num_vgpr, 44
	.set _ZN2at6native12_GLOBAL__N_131cdist_backward_kernel_cuda_implIdNS1_5distsIdE6lt_twoEEEvPT_PKS6_S9_S9_S9_S6_lllllll.num_agpr, 0
	.set _ZN2at6native12_GLOBAL__N_131cdist_backward_kernel_cuda_implIdNS1_5distsIdE6lt_twoEEEvPT_PKS6_S9_S9_S9_S6_lllllll.numbered_sgpr, 80
	.set _ZN2at6native12_GLOBAL__N_131cdist_backward_kernel_cuda_implIdNS1_5distsIdE6lt_twoEEEvPT_PKS6_S9_S9_S9_S6_lllllll.num_named_barrier, 0
	.set _ZN2at6native12_GLOBAL__N_131cdist_backward_kernel_cuda_implIdNS1_5distsIdE6lt_twoEEEvPT_PKS6_S9_S9_S9_S6_lllllll.private_seg_size, 0
	.set _ZN2at6native12_GLOBAL__N_131cdist_backward_kernel_cuda_implIdNS1_5distsIdE6lt_twoEEEvPT_PKS6_S9_S9_S9_S6_lllllll.uses_vcc, 1
	.set _ZN2at6native12_GLOBAL__N_131cdist_backward_kernel_cuda_implIdNS1_5distsIdE6lt_twoEEEvPT_PKS6_S9_S9_S9_S6_lllllll.uses_flat_scratch, 0
	.set _ZN2at6native12_GLOBAL__N_131cdist_backward_kernel_cuda_implIdNS1_5distsIdE6lt_twoEEEvPT_PKS6_S9_S9_S9_S6_lllllll.has_dyn_sized_stack, 0
	.set _ZN2at6native12_GLOBAL__N_131cdist_backward_kernel_cuda_implIdNS1_5distsIdE6lt_twoEEEvPT_PKS6_S9_S9_S9_S6_lllllll.has_recursion, 0
	.set _ZN2at6native12_GLOBAL__N_131cdist_backward_kernel_cuda_implIdNS1_5distsIdE6lt_twoEEEvPT_PKS6_S9_S9_S9_S6_lllllll.has_indirect_call, 0
	.section	.AMDGPU.csdata,"",@progbits
; Kernel info:
; codeLenInByte = 6624
; TotalNumSgprs: 82
; NumVgprs: 44
; ScratchSize: 0
; MemoryBound: 0
; FloatMode: 240
; IeeeMode: 1
; LDSByteSize: 0 bytes/workgroup (compile time only)
; SGPRBlocks: 0
; VGPRBlocks: 5
; NumSGPRsForWavesPerEU: 82
; NumVGPRsForWavesPerEU: 44
; Occupancy: 16
; WaveLimiterHint : 0
; COMPUTE_PGM_RSRC2:SCRATCH_EN: 0
; COMPUTE_PGM_RSRC2:USER_SGPR: 2
; COMPUTE_PGM_RSRC2:TRAP_HANDLER: 0
; COMPUTE_PGM_RSRC2:TGID_X_EN: 1
; COMPUTE_PGM_RSRC2:TGID_Y_EN: 1
; COMPUTE_PGM_RSRC2:TGID_Z_EN: 1
; COMPUTE_PGM_RSRC2:TIDIG_COMP_CNT: 1
	.section	.text._ZN2at6native12_GLOBAL__N_131cdist_backward_kernel_cuda_implIdNS1_5distsIdE3twoEEEvPT_PKS6_S9_S9_S9_S6_lllllll,"axG",@progbits,_ZN2at6native12_GLOBAL__N_131cdist_backward_kernel_cuda_implIdNS1_5distsIdE3twoEEEvPT_PKS6_S9_S9_S9_S6_lllllll,comdat
	.globl	_ZN2at6native12_GLOBAL__N_131cdist_backward_kernel_cuda_implIdNS1_5distsIdE3twoEEEvPT_PKS6_S9_S9_S9_S6_lllllll ; -- Begin function _ZN2at6native12_GLOBAL__N_131cdist_backward_kernel_cuda_implIdNS1_5distsIdE3twoEEEvPT_PKS6_S9_S9_S9_S6_lllllll
	.p2align	8
	.type	_ZN2at6native12_GLOBAL__N_131cdist_backward_kernel_cuda_implIdNS1_5distsIdE3twoEEEvPT_PKS6_S9_S9_S9_S6_lllllll,@function
_ZN2at6native12_GLOBAL__N_131cdist_backward_kernel_cuda_implIdNS1_5distsIdE3twoEEEvPT_PKS6_S9_S9_S9_S6_lllllll: ; @_ZN2at6native12_GLOBAL__N_131cdist_backward_kernel_cuda_implIdNS1_5distsIdE3twoEEEvPT_PKS6_S9_S9_S9_S6_lllllll
; %bb.0:
	s_clause 0x1
	s_load_b64 s[2:3], s[0:1], 0x70
	s_load_b256 s[4:11], s[0:1], 0x30
	s_and_b32 s12, ttmp7, 0xffff
	v_bfe_u32 v1, v0, 10, 10
	s_lshr_b32 s13, ttmp7, 16
	s_wait_kmcnt 0x0
	s_mul_i32 s2, s2, s12
	s_lshr_b32 s12, s3, 16
	s_add_co_i32 s2, s2, s13
	s_delay_alu instid0(SALU_CYCLE_1) | instskip(SKIP_2) | instid1(VALU_DEP_1)
	v_mad_co_u64_u32 v[2:3], null, s2, s12, v[1:2]
	s_mov_b32 s2, exec_lo
	v_ashrrev_i32_e32 v3, 31, v2
	v_cmpx_gt_i64_e64 s[10:11], v[2:3]
	s_cbranch_execz .LBB33_14
; %bb.1:
	v_and_b32_e32 v0, 0x3ff, v0
	s_and_b32 s3, s3, 0xffff
	s_load_b256 s[12:19], s[0:1], 0x50
	s_delay_alu instid0(VALU_DEP_1) | instskip(NEXT) | instid1(VALU_DEP_1)
	v_mad_co_u64_u32 v[0:1], null, ttmp9, s3, v[0:1]
	v_ashrrev_i32_e32 v1, 31, v0
	s_delay_alu instid0(VALU_DEP_1)
	v_cmp_gt_i64_e32 vcc_lo, s[8:9], v[0:1]
	s_and_b32 exec_lo, exec_lo, vcc_lo
	s_cbranch_execz .LBB33_14
; %bb.2:
	s_wait_kmcnt 0x0
	v_or_b32_e32 v5, s13, v3
	v_mov_b32_e32 v4, 0
	s_delay_alu instid0(VALU_DEP_1)
	v_cmp_ne_u64_e32 vcc_lo, 0, v[4:5]
                                        ; implicit-def: $vgpr4_vgpr5
	s_and_saveexec_b32 s2, vcc_lo
	s_wait_alu 0xfffe
	s_xor_b32 s20, exec_lo, s2
	s_cbranch_execz .LBB33_4
; %bb.3:
	s_ashr_i32 s10, s13, 31
	s_mov_b32 s29, 0
	s_wait_alu 0xfffe
	s_mov_b32 s11, s10
	v_ashrrev_i32_e32 v10, 31, v3
	s_wait_alu 0xfffe
	s_add_nc_u64 s[18:19], s[12:13], s[10:11]
	s_delay_alu instid0(SALU_CYCLE_1) | instskip(NEXT) | instid1(VALU_DEP_1)
	s_xor_b64 s[18:19], s[18:19], s[10:11]
	v_add_co_u32 v4, vcc_lo, v2, v10
	s_cvt_f32_u32 s2, s18
	s_cvt_f32_u32 s11, s19
	s_sub_nc_u64 s[24:25], 0, s[18:19]
	v_add_co_ci_u32_e64 v5, null, v3, v10, vcc_lo
	s_wait_alu 0xfffe
	s_fmamk_f32 s2, s11, 0x4f800000, s2
	v_xor_b32_e32 v11, v4, v10
	s_delay_alu instid0(VALU_DEP_2) | instskip(SKIP_2) | instid1(TRANS32_DEP_1)
	v_xor_b32_e32 v12, v5, v10
	s_wait_alu 0xfffe
	v_s_rcp_f32 s2, s2
	s_mul_f32 s2, s2, 0x5f7ffffc
	s_wait_alu 0xfffe
	s_delay_alu instid0(SALU_CYCLE_2) | instskip(SKIP_1) | instid1(SALU_CYCLE_2)
	s_mul_f32 s11, s2, 0x2f800000
	s_wait_alu 0xfffe
	s_trunc_f32 s11, s11
	s_wait_alu 0xfffe
	s_delay_alu instid0(SALU_CYCLE_2) | instskip(SKIP_2) | instid1(SALU_CYCLE_1)
	s_fmamk_f32 s2, s11, 0xcf800000, s2
	s_cvt_u32_f32 s23, s11
	s_wait_alu 0xfffe
	s_cvt_u32_f32 s22, s2
	s_delay_alu instid0(SALU_CYCLE_3) | instskip(NEXT) | instid1(SALU_CYCLE_1)
	s_mul_u64 s[26:27], s[24:25], s[22:23]
	s_mul_hi_u32 s31, s22, s27
	s_mul_i32 s30, s22, s27
	s_mul_hi_u32 s28, s22, s26
	s_mul_i32 s11, s23, s26
	s_add_nc_u64 s[30:31], s[28:29], s[30:31]
	s_mul_hi_u32 s2, s23, s26
	s_mul_hi_u32 s21, s23, s27
	s_wait_alu 0xfffe
	s_add_co_u32 s11, s30, s11
	s_add_co_ci_u32 s28, s31, s2
	s_mul_i32 s26, s23, s27
	s_add_co_ci_u32 s27, s21, 0
	s_delay_alu instid0(SALU_CYCLE_1) | instskip(NEXT) | instid1(SALU_CYCLE_1)
	s_add_nc_u64 s[26:27], s[28:29], s[26:27]
	s_add_co_u32 s22, s22, s26
	s_cselect_b32 s2, -1, 0
	s_wait_alu 0xfffe
	s_cmp_lg_u32 s2, 0
	s_add_co_ci_u32 s23, s23, s27
	s_delay_alu instid0(SALU_CYCLE_1) | instskip(NEXT) | instid1(SALU_CYCLE_1)
	s_mul_u64 s[24:25], s[24:25], s[22:23]
	s_mul_hi_u32 s27, s22, s25
	s_mul_i32 s26, s22, s25
	s_mul_hi_u32 s28, s22, s24
	s_mul_i32 s11, s23, s24
	s_add_nc_u64 s[26:27], s[28:29], s[26:27]
	s_mul_hi_u32 s2, s23, s24
	s_mul_hi_u32 s21, s23, s25
	s_wait_alu 0xfffe
	s_add_co_u32 s11, s26, s11
	s_add_co_ci_u32 s28, s27, s2
	s_mul_i32 s24, s23, s25
	s_add_co_ci_u32 s25, s21, 0
	s_delay_alu instid0(SALU_CYCLE_1) | instskip(NEXT) | instid1(SALU_CYCLE_1)
	s_add_nc_u64 s[24:25], s[28:29], s[24:25]
	s_add_co_u32 s2, s22, s24
	s_cselect_b32 s11, -1, 0
	s_wait_alu 0xfffe
	v_mul_hi_u32 v13, v11, s2
	s_cmp_lg_u32 s11, 0
	v_mad_co_u64_u32 v[6:7], null, v12, s2, 0
	s_add_co_ci_u32 s11, s23, s25
	s_wait_alu 0xfffe
	v_mad_co_u64_u32 v[4:5], null, v11, s11, 0
	v_mad_co_u64_u32 v[8:9], null, v12, s11, 0
	s_delay_alu instid0(VALU_DEP_2) | instskip(SKIP_1) | instid1(VALU_DEP_3)
	v_add_co_u32 v4, vcc_lo, v13, v4
	s_wait_alu 0xfffd
	v_add_co_ci_u32_e64 v5, null, 0, v5, vcc_lo
	s_delay_alu instid0(VALU_DEP_2) | instskip(SKIP_1) | instid1(VALU_DEP_2)
	v_add_co_u32 v4, vcc_lo, v4, v6
	s_wait_alu 0xfffd
	v_add_co_ci_u32_e32 v4, vcc_lo, v5, v7, vcc_lo
	s_wait_alu 0xfffd
	v_add_co_ci_u32_e32 v5, vcc_lo, 0, v9, vcc_lo
	s_delay_alu instid0(VALU_DEP_2) | instskip(SKIP_1) | instid1(VALU_DEP_2)
	v_add_co_u32 v6, vcc_lo, v4, v8
	s_wait_alu 0xfffd
	v_add_co_ci_u32_e64 v7, null, 0, v5, vcc_lo
	s_delay_alu instid0(VALU_DEP_2) | instskip(SKIP_1) | instid1(VALU_DEP_3)
	v_mul_lo_u32 v8, s19, v6
	v_mad_co_u64_u32 v[4:5], null, s18, v6, 0
	v_mul_lo_u32 v9, s18, v7
	s_delay_alu instid0(VALU_DEP_2) | instskip(NEXT) | instid1(VALU_DEP_2)
	v_sub_co_u32 v4, vcc_lo, v11, v4
	v_add3_u32 v5, v5, v9, v8
	v_add_co_u32 v9, s2, v6, 2
	s_wait_alu 0xf1ff
	v_add_co_ci_u32_e64 v11, null, 0, v7, s2
	s_delay_alu instid0(VALU_DEP_3) | instskip(SKIP_3) | instid1(VALU_DEP_3)
	v_sub_nc_u32_e32 v8, v12, v5
	v_sub_co_u32 v13, s2, v4, s18
	s_wait_alu 0xfffd
	v_sub_co_ci_u32_e64 v5, null, v12, v5, vcc_lo
	v_subrev_co_ci_u32_e64 v8, null, s19, v8, vcc_lo
	s_delay_alu instid0(VALU_DEP_3) | instskip(SKIP_1) | instid1(VALU_DEP_2)
	v_cmp_le_u32_e32 vcc_lo, s18, v13
	s_wait_alu 0xf1ff
	v_subrev_co_ci_u32_e64 v8, null, 0, v8, s2
	s_wait_alu 0xfffd
	v_cndmask_b32_e64 v12, 0, -1, vcc_lo
	s_delay_alu instid0(VALU_DEP_2)
	v_cmp_le_u32_e32 vcc_lo, s19, v8
	s_wait_alu 0xfffd
	v_cndmask_b32_e64 v13, 0, -1, vcc_lo
	v_cmp_le_u32_e32 vcc_lo, s18, v4
	s_wait_alu 0xfffd
	v_cndmask_b32_e64 v4, 0, -1, vcc_lo
	;; [unrolled: 3-line block ×3, first 2 shown]
	v_cmp_eq_u32_e32 vcc_lo, s19, v8
	s_wait_alu 0xfffd
	v_cndmask_b32_e32 v8, v13, v12, vcc_lo
	v_add_co_u32 v12, vcc_lo, v6, 1
	s_wait_alu 0xfffd
	v_add_co_ci_u32_e64 v13, null, 0, v7, vcc_lo
	v_cmp_eq_u32_e32 vcc_lo, s19, v5
	s_wait_alu 0xfffd
	v_cndmask_b32_e32 v4, v14, v4, vcc_lo
	v_cmp_ne_u32_e32 vcc_lo, 0, v8
	v_xor_b32_e32 v8, s10, v10
	s_wait_alu 0xfffd
	v_cndmask_b32_e32 v5, v13, v11, vcc_lo
	v_cmp_ne_u32_e64 s2, 0, v4
	v_cndmask_b32_e32 v4, v12, v9, vcc_lo
	s_wait_alu 0xf1ff
	s_delay_alu instid0(VALU_DEP_2) | instskip(NEXT) | instid1(VALU_DEP_2)
	v_cndmask_b32_e64 v5, v7, v5, s2
	v_cndmask_b32_e64 v4, v6, v4, s2
	s_delay_alu instid0(VALU_DEP_2) | instskip(NEXT) | instid1(VALU_DEP_2)
	v_xor_b32_e32 v5, v5, v8
	v_xor_b32_e32 v4, v4, v8
	s_delay_alu instid0(VALU_DEP_1) | instskip(SKIP_1) | instid1(VALU_DEP_3)
	v_sub_co_u32 v4, vcc_lo, v4, v8
	s_wait_alu 0xfffd
	v_sub_co_ci_u32_e64 v5, null, v5, v8, vcc_lo
.LBB33_4:
	s_and_not1_saveexec_b32 s2, s20
	s_cbranch_execz .LBB33_6
; %bb.5:
	v_cvt_f32_u32_e32 v4, s12
	s_sub_co_i32 s10, 0, s12
	s_delay_alu instid0(VALU_DEP_1) | instskip(NEXT) | instid1(TRANS32_DEP_1)
	v_rcp_iflag_f32_e32 v4, v4
	v_mul_f32_e32 v4, 0x4f7ffffe, v4
	s_delay_alu instid0(VALU_DEP_1) | instskip(SKIP_1) | instid1(VALU_DEP_1)
	v_cvt_u32_f32_e32 v4, v4
	s_wait_alu 0xfffe
	v_mul_lo_u32 v5, s10, v4
	s_delay_alu instid0(VALU_DEP_1) | instskip(NEXT) | instid1(VALU_DEP_1)
	v_mul_hi_u32 v5, v4, v5
	v_add_nc_u32_e32 v4, v4, v5
	s_delay_alu instid0(VALU_DEP_1) | instskip(NEXT) | instid1(VALU_DEP_1)
	v_mul_hi_u32 v4, v2, v4
	v_mul_lo_u32 v5, v4, s12
	v_add_nc_u32_e32 v6, 1, v4
	s_delay_alu instid0(VALU_DEP_2) | instskip(NEXT) | instid1(VALU_DEP_1)
	v_sub_nc_u32_e32 v5, v2, v5
	v_subrev_nc_u32_e32 v7, s12, v5
	v_cmp_le_u32_e32 vcc_lo, s12, v5
	s_wait_alu 0xfffd
	s_delay_alu instid0(VALU_DEP_2) | instskip(NEXT) | instid1(VALU_DEP_1)
	v_dual_cndmask_b32 v5, v5, v7 :: v_dual_cndmask_b32 v4, v4, v6
	v_cmp_le_u32_e32 vcc_lo, s12, v5
	s_delay_alu instid0(VALU_DEP_2) | instskip(SKIP_1) | instid1(VALU_DEP_1)
	v_dual_mov_b32 v5, 0 :: v_dual_add_nc_u32 v6, 1, v4
	s_wait_alu 0xfffd
	v_cndmask_b32_e32 v4, v4, v6, vcc_lo
.LBB33_6:
	s_wait_alu 0xfffe
	s_or_b32 exec_lo, exec_lo, s2
	v_mul_lo_u32 v7, v5, s12
	s_delay_alu instid0(VALU_DEP_2)
	v_mul_lo_u32 v8, v4, s13
	v_mad_co_u64_u32 v[5:6], null, v4, s12, 0
	s_add_nc_u64 s[10:11], s[0:1], 0x68
	s_mov_b32 s2, exec_lo
	v_add3_u32 v6, v6, v8, v7
	v_sub_co_u32 v10, vcc_lo, v2, v5
                                        ; implicit-def: $vgpr8_vgpr9
	s_wait_alu 0xfffd
	s_delay_alu instid0(VALU_DEP_2) | instskip(SKIP_1) | instid1(VALU_DEP_2)
	v_sub_co_ci_u32_e64 v11, null, v3, v6, vcc_lo
	v_mov_b32_e32 v6, 0
	v_or_b32_e32 v7, s7, v11
	s_delay_alu instid0(VALU_DEP_1)
	v_cmpx_ne_u64_e32 0, v[6:7]
	s_wait_alu 0xfffe
	s_xor_b32 s20, exec_lo, s2
	s_cbranch_execz .LBB33_8
; %bb.7:
	s_ashr_i32 s12, s7, 31
	s_mov_b32 s29, 0
	s_wait_alu 0xfffe
	s_mov_b32 s13, s12
	v_ashrrev_i32_e32 v14, 31, v11
	s_wait_alu 0xfffe
	s_add_nc_u64 s[18:19], s[6:7], s[12:13]
	s_wait_alu 0xfffe
	s_xor_b64 s[18:19], s[18:19], s[12:13]
	v_add_co_u32 v6, vcc_lo, v10, v14
	s_wait_alu 0xfffe
	s_cvt_f32_u32 s2, s18
	s_cvt_f32_u32 s13, s19
	s_sub_nc_u64 s[24:25], 0, s[18:19]
	s_wait_alu 0xfffd
	v_add_co_ci_u32_e64 v7, null, v11, v14, vcc_lo
	s_wait_alu 0xfffe
	s_fmamk_f32 s2, s13, 0x4f800000, s2
	v_xor_b32_e32 v15, v6, v14
	s_delay_alu instid0(VALU_DEP_2) | instskip(SKIP_2) | instid1(TRANS32_DEP_1)
	v_xor_b32_e32 v16, v7, v14
	s_wait_alu 0xfffe
	v_s_rcp_f32 s2, s2
	s_mul_f32 s2, s2, 0x5f7ffffc
	s_wait_alu 0xfffe
	s_delay_alu instid0(SALU_CYCLE_2) | instskip(SKIP_1) | instid1(SALU_CYCLE_2)
	s_mul_f32 s13, s2, 0x2f800000
	s_wait_alu 0xfffe
	s_trunc_f32 s13, s13
	s_wait_alu 0xfffe
	s_delay_alu instid0(SALU_CYCLE_2) | instskip(SKIP_2) | instid1(SALU_CYCLE_1)
	s_fmamk_f32 s2, s13, 0xcf800000, s2
	s_cvt_u32_f32 s23, s13
	s_wait_alu 0xfffe
	s_cvt_u32_f32 s22, s2
	s_delay_alu instid0(SALU_CYCLE_3) | instskip(NEXT) | instid1(SALU_CYCLE_1)
	s_mul_u64 s[26:27], s[24:25], s[22:23]
	s_mul_hi_u32 s31, s22, s27
	s_mul_i32 s30, s22, s27
	s_mul_hi_u32 s28, s22, s26
	s_mul_i32 s13, s23, s26
	s_add_nc_u64 s[30:31], s[28:29], s[30:31]
	s_mul_hi_u32 s2, s23, s26
	s_mul_hi_u32 s21, s23, s27
	s_wait_alu 0xfffe
	s_add_co_u32 s13, s30, s13
	s_add_co_ci_u32 s28, s31, s2
	s_mul_i32 s26, s23, s27
	s_add_co_ci_u32 s27, s21, 0
	s_delay_alu instid0(SALU_CYCLE_1) | instskip(NEXT) | instid1(SALU_CYCLE_1)
	s_add_nc_u64 s[26:27], s[28:29], s[26:27]
	s_add_co_u32 s22, s22, s26
	s_cselect_b32 s2, -1, 0
	s_wait_alu 0xfffe
	s_cmp_lg_u32 s2, 0
	s_add_co_ci_u32 s23, s23, s27
	s_delay_alu instid0(SALU_CYCLE_1) | instskip(NEXT) | instid1(SALU_CYCLE_1)
	s_mul_u64 s[24:25], s[24:25], s[22:23]
	s_mul_hi_u32 s27, s22, s25
	s_mul_i32 s26, s22, s25
	s_mul_hi_u32 s28, s22, s24
	s_mul_i32 s13, s23, s24
	s_add_nc_u64 s[26:27], s[28:29], s[26:27]
	s_mul_hi_u32 s2, s23, s24
	s_mul_hi_u32 s21, s23, s25
	s_wait_alu 0xfffe
	s_add_co_u32 s13, s26, s13
	s_add_co_ci_u32 s28, s27, s2
	s_mul_i32 s24, s23, s25
	s_add_co_ci_u32 s25, s21, 0
	s_delay_alu instid0(SALU_CYCLE_1) | instskip(NEXT) | instid1(SALU_CYCLE_1)
	s_add_nc_u64 s[24:25], s[28:29], s[24:25]
	s_add_co_u32 s2, s22, s24
	s_cselect_b32 s13, -1, 0
	s_wait_alu 0xfffe
	v_mul_hi_u32 v17, v15, s2
	s_cmp_lg_u32 s13, 0
	v_mad_co_u64_u32 v[8:9], null, v16, s2, 0
	s_add_co_ci_u32 s13, s23, s25
	s_wait_alu 0xfffe
	v_mad_co_u64_u32 v[6:7], null, v15, s13, 0
	v_mad_co_u64_u32 v[12:13], null, v16, s13, 0
	s_delay_alu instid0(VALU_DEP_2) | instskip(SKIP_1) | instid1(VALU_DEP_3)
	v_add_co_u32 v6, vcc_lo, v17, v6
	s_wait_alu 0xfffd
	v_add_co_ci_u32_e64 v7, null, 0, v7, vcc_lo
	s_delay_alu instid0(VALU_DEP_2) | instskip(SKIP_1) | instid1(VALU_DEP_2)
	v_add_co_u32 v6, vcc_lo, v6, v8
	s_wait_alu 0xfffd
	v_add_co_ci_u32_e32 v6, vcc_lo, v7, v9, vcc_lo
	s_wait_alu 0xfffd
	v_add_co_ci_u32_e32 v7, vcc_lo, 0, v13, vcc_lo
	s_delay_alu instid0(VALU_DEP_2) | instskip(SKIP_1) | instid1(VALU_DEP_2)
	v_add_co_u32 v8, vcc_lo, v6, v12
	s_wait_alu 0xfffd
	v_add_co_ci_u32_e64 v9, null, 0, v7, vcc_lo
	s_delay_alu instid0(VALU_DEP_2) | instskip(SKIP_1) | instid1(VALU_DEP_3)
	v_mul_lo_u32 v12, s19, v8
	v_mad_co_u64_u32 v[6:7], null, s18, v8, 0
	v_mul_lo_u32 v13, s18, v9
	s_delay_alu instid0(VALU_DEP_2) | instskip(NEXT) | instid1(VALU_DEP_2)
	v_sub_co_u32 v6, vcc_lo, v15, v6
	v_add3_u32 v7, v7, v13, v12
	v_add_co_u32 v13, s2, v8, 2
	s_wait_alu 0xf1ff
	v_add_co_ci_u32_e64 v15, null, 0, v9, s2
	s_delay_alu instid0(VALU_DEP_3) | instskip(SKIP_3) | instid1(VALU_DEP_3)
	v_sub_nc_u32_e32 v12, v16, v7
	v_sub_co_u32 v17, s2, v6, s18
	s_wait_alu 0xfffd
	v_sub_co_ci_u32_e64 v7, null, v16, v7, vcc_lo
	v_subrev_co_ci_u32_e64 v12, null, s19, v12, vcc_lo
	s_delay_alu instid0(VALU_DEP_3) | instskip(SKIP_1) | instid1(VALU_DEP_2)
	v_cmp_le_u32_e32 vcc_lo, s18, v17
	s_wait_alu 0xf1ff
	v_subrev_co_ci_u32_e64 v12, null, 0, v12, s2
	s_wait_alu 0xfffd
	v_cndmask_b32_e64 v16, 0, -1, vcc_lo
	s_delay_alu instid0(VALU_DEP_2)
	v_cmp_le_u32_e32 vcc_lo, s19, v12
	s_wait_alu 0xfffd
	v_cndmask_b32_e64 v17, 0, -1, vcc_lo
	v_cmp_le_u32_e32 vcc_lo, s18, v6
	s_wait_alu 0xfffd
	v_cndmask_b32_e64 v6, 0, -1, vcc_lo
	;; [unrolled: 3-line block ×3, first 2 shown]
	v_cmp_eq_u32_e32 vcc_lo, s19, v12
	s_wait_alu 0xfffd
	v_cndmask_b32_e32 v12, v17, v16, vcc_lo
	v_add_co_u32 v16, vcc_lo, v8, 1
	s_wait_alu 0xfffd
	v_add_co_ci_u32_e64 v17, null, 0, v9, vcc_lo
	v_cmp_eq_u32_e32 vcc_lo, s19, v7
	s_wait_alu 0xfffd
	v_cndmask_b32_e32 v6, v18, v6, vcc_lo
	v_cmp_ne_u32_e32 vcc_lo, 0, v12
	v_xor_b32_e32 v12, s12, v14
	s_wait_alu 0xfffd
	v_cndmask_b32_e32 v7, v17, v15, vcc_lo
	v_cmp_ne_u32_e64 s2, 0, v6
	v_cndmask_b32_e32 v6, v16, v13, vcc_lo
	s_wait_alu 0xf1ff
	s_delay_alu instid0(VALU_DEP_2) | instskip(NEXT) | instid1(VALU_DEP_2)
	v_cndmask_b32_e64 v7, v9, v7, s2
	v_cndmask_b32_e64 v6, v8, v6, s2
	s_delay_alu instid0(VALU_DEP_2) | instskip(NEXT) | instid1(VALU_DEP_2)
	v_xor_b32_e32 v7, v7, v12
	v_xor_b32_e32 v6, v6, v12
	s_delay_alu instid0(VALU_DEP_1) | instskip(SKIP_1) | instid1(VALU_DEP_3)
	v_sub_co_u32 v8, vcc_lo, v6, v12
	s_wait_alu 0xfffd
	v_sub_co_ci_u32_e64 v9, null, v7, v12, vcc_lo
.LBB33_8:
	s_or_saveexec_b32 s12, s20
	s_load_b32 s2, s[10:11], 0x0
	s_xor_b32 exec_lo, exec_lo, s12
	s_cbranch_execz .LBB33_10
; %bb.9:
	v_cvt_f32_u32_e32 v6, s6
	s_sub_co_i32 s10, 0, s6
	s_delay_alu instid0(VALU_DEP_1) | instskip(NEXT) | instid1(TRANS32_DEP_1)
	v_rcp_iflag_f32_e32 v6, v6
	v_mul_f32_e32 v6, 0x4f7ffffe, v6
	s_delay_alu instid0(VALU_DEP_1) | instskip(SKIP_1) | instid1(VALU_DEP_1)
	v_cvt_u32_f32_e32 v6, v6
	s_wait_alu 0xfffe
	v_mul_lo_u32 v7, s10, v6
	s_delay_alu instid0(VALU_DEP_1) | instskip(NEXT) | instid1(VALU_DEP_1)
	v_mul_hi_u32 v7, v6, v7
	v_add_nc_u32_e32 v6, v6, v7
	s_delay_alu instid0(VALU_DEP_1) | instskip(NEXT) | instid1(VALU_DEP_1)
	v_mul_hi_u32 v6, v10, v6
	v_mul_lo_u32 v7, v6, s6
	v_add_nc_u32_e32 v8, 1, v6
	s_delay_alu instid0(VALU_DEP_2) | instskip(NEXT) | instid1(VALU_DEP_1)
	v_sub_nc_u32_e32 v7, v10, v7
	v_subrev_nc_u32_e32 v9, s6, v7
	v_cmp_le_u32_e32 vcc_lo, s6, v7
	s_wait_alu 0xfffd
	s_delay_alu instid0(VALU_DEP_2) | instskip(SKIP_1) | instid1(VALU_DEP_2)
	v_dual_cndmask_b32 v7, v7, v9 :: v_dual_cndmask_b32 v6, v6, v8
	v_mov_b32_e32 v9, 0
	v_cmp_le_u32_e32 vcc_lo, s6, v7
	s_delay_alu instid0(VALU_DEP_3) | instskip(SKIP_1) | instid1(VALU_DEP_1)
	v_add_nc_u32_e32 v8, 1, v6
	s_wait_alu 0xfffd
	v_cndmask_b32_e32 v8, v6, v8, vcc_lo
.LBB33_10:
	s_or_b32 exec_lo, exec_lo, s12
	s_load_b64 s[10:11], s[0:1], 0x20
	v_lshlrev_b64_e32 v[6:7], 3, v[2:3]
	s_load_b256 s[20:27], s[0:1], 0x0
	v_ashrrev_i32_e32 v18, 31, v4
	v_mul_lo_u32 v19, v4, s15
	v_mad_co_u64_u32 v[12:13], null, v4, s14, 0
	v_mul_lo_u32 v23, v9, s6
	s_delay_alu instid0(VALU_DEP_4)
	v_mul_lo_u32 v20, v18, s14
	v_mul_lo_u32 v24, v8, s7
	v_mad_co_u64_u32 v[14:15], null, v8, s6, 0
	v_mul_lo_u32 v21, v9, s8
	v_mul_lo_u32 v22, v8, s9
	v_mad_co_u64_u32 v[16:17], null, v8, s8, 0
	v_add3_u32 v13, v13, v19, v20
	s_lshl_b64 s[0:1], s[8:9], 3
	v_add3_u32 v15, v15, v24, v23
	v_mul_lo_u32 v23, v4, s17
	s_wait_kmcnt 0x0
	v_add_co_u32 v2, vcc_lo, s10, v6
	s_wait_alu 0xfffd
	v_add_co_ci_u32_e64 v3, null, s11, v7, vcc_lo
	v_add_co_u32 v6, vcc_lo, s22, v6
	s_wait_alu 0xfffd
	v_add_co_ci_u32_e64 v7, null, s23, v7, vcc_lo
	global_load_b64 v[2:3], v[2:3], off
	v_lshlrev_b64_e32 v[12:13], 3, v[12:13]
	v_add3_u32 v17, v17, v22, v21
	global_load_b64 v[6:7], v[6:7], off
	v_sub_co_u32 v19, vcc_lo, v10, v14
	s_wait_alu 0xfffd
	v_sub_co_ci_u32_e64 v20, null, v11, v15, vcc_lo
	v_lshlrev_b64_e32 v[10:11], 3, v[16:17]
	v_add_co_u32 v12, vcc_lo, s24, v12
	v_mul_lo_u32 v16, v19, s5
	s_delay_alu instid0(VALU_DEP_4)
	v_mul_lo_u32 v17, v20, s4
	v_mad_co_u64_u32 v[14:15], null, v19, s4, v[8:9]
	s_wait_alu 0xfffd
	v_add_co_ci_u32_e64 v13, null, s25, v13, vcc_lo
	v_add_co_u32 v12, vcc_lo, v12, v10
	v_mul_lo_u32 v24, v18, s16
	s_wait_alu 0xfffd
	s_delay_alu instid0(VALU_DEP_3)
	v_add_co_ci_u32_e64 v13, null, v13, v11, vcc_lo
	v_add3_u32 v16, v17, v15, v16
	s_wait_alu 0xfffe
	v_add_co_u32 v8, vcc_lo, v12, s0
	v_mul_lo_u32 v15, s8, v5
	v_mul_lo_u32 v22, v14, s9
	v_mul_lo_u32 v21, v16, s8
	v_mad_co_u64_u32 v[16:17], null, v14, s8, 0
	v_mov_b32_e32 v14, 0
	v_mad_co_u64_u32 v[4:5], null, v4, s16, 0
	v_lshlrev_b64_e32 v[0:1], 3, v[0:1]
	v_mul_lo_u32 v20, v20, s8
	s_delay_alu instid0(VALU_DEP_4)
	v_ashrrev_i64 v[14:15], 29, v[14:15]
	v_add3_u32 v17, v17, v22, v21
	v_mul_lo_u32 v21, v19, s9
	v_mad_co_u64_u32 v[18:19], null, v19, s8, 0
	v_add3_u32 v5, v5, v23, v24
	s_wait_alu 0xfffd
	v_add_co_ci_u32_e64 v9, null, s1, v13, vcc_lo
	v_add_co_u32 v10, vcc_lo, v12, v0
	v_lshlrev_b64_e32 v[16:17], 3, v[16:17]
	s_wait_alu 0xfffd
	v_add_co_ci_u32_e64 v11, null, v13, v1, vcc_lo
	v_add_co_u32 v14, vcc_lo, s20, v14
	s_wait_alu 0xfffd
	v_add_co_ci_u32_e64 v15, null, s21, v15, vcc_lo
	v_lshlrev_b64_e32 v[4:5], 3, v[4:5]
	v_add3_u32 v19, v19, v21, v20
	v_add_co_u32 v14, vcc_lo, v14, v16
	s_wait_alu 0xfffd
	v_add_co_ci_u32_e64 v15, null, v15, v17, vcc_lo
	s_delay_alu instid0(VALU_DEP_3)
	v_lshlrev_b64_e32 v[16:17], 3, v[18:19]
	v_add_co_u32 v4, vcc_lo, s26, v4
	s_wait_alu 0xfffd
	v_add_co_ci_u32_e64 v5, null, s27, v5, vcc_lo
	s_mul_i32 s2, s2, s3
	v_add_co_u32 v16, vcc_lo, v4, v16
	s_wait_alu 0xfffd
	v_add_co_ci_u32_e64 v17, null, v5, v17, vcc_lo
	s_wait_alu 0xfffe
	s_ashr_i32 s3, s2, 31
	s_mov_b32 s4, 0
	s_wait_alu 0xfffe
	s_lshl_b64 s[2:3], s[2:3], 3
	s_wait_loadcnt 0x1
	v_cmp_neq_f64_e64 s0, 0, v[2:3]
	s_branch .LBB33_12
.LBB33_11:                              ;   in Loop: Header=BB33_12 Depth=1
	s_wait_alu 0xfffe
	s_or_b32 exec_lo, exec_lo, s1
	v_add_co_u32 v10, vcc_lo, v10, s2
	s_wait_alu 0xfffd
	v_add_co_ci_u32_e64 v11, null, s3, v11, vcc_lo
	v_add_co_u32 v18, vcc_lo, v14, v0
	s_wait_alu 0xfffd
	v_add_co_ci_u32_e64 v19, null, v15, v1, vcc_lo
	s_delay_alu instid0(VALU_DEP_3)
	v_cmp_ge_u64_e32 vcc_lo, v[10:11], v[8:9]
	v_add_co_u32 v0, s1, v0, s2
	s_wait_alu 0xf1ff
	v_add_co_ci_u32_e64 v1, null, s3, v1, s1
	global_store_b64 v[18:19], v[4:5], off
	s_or_b32 s4, vcc_lo, s4
	s_wait_alu 0xfffe
	s_and_not1_b32 exec_lo, exec_lo, s4
	s_cbranch_execz .LBB33_14
.LBB33_12:                              ; =>This Inner Loop Header: Depth=1
	v_mov_b32_e32 v4, 0
	v_mov_b32_e32 v5, 0
	s_delay_alu instid0(VALU_DEP_3)
	s_and_saveexec_b32 s1, s0
	s_cbranch_execz .LBB33_11
; %bb.13:                               ;   in Loop: Header=BB33_12 Depth=1
	v_add_co_u32 v4, vcc_lo, v12, v0
	s_wait_alu 0xfffd
	v_add_co_ci_u32_e64 v5, null, v13, v1, vcc_lo
	v_add_co_u32 v18, vcc_lo, v16, v0
	s_wait_alu 0xfffd
	v_add_co_ci_u32_e64 v19, null, v17, v1, vcc_lo
	global_load_b64 v[4:5], v[4:5], off
	global_load_b64 v[18:19], v[18:19], off
	s_wait_loadcnt 0x0
	v_add_f64_e64 v[4:5], v[4:5], -v[18:19]
	s_delay_alu instid0(VALU_DEP_1) | instskip(NEXT) | instid1(VALU_DEP_1)
	v_mul_f64_e32 v[4:5], v[6:7], v[4:5]
	v_div_scale_f64 v[18:19], null, v[2:3], v[2:3], v[4:5]
	s_delay_alu instid0(VALU_DEP_1) | instskip(NEXT) | instid1(TRANS32_DEP_1)
	v_rcp_f64_e32 v[20:21], v[18:19]
	v_fma_f64 v[22:23], -v[18:19], v[20:21], 1.0
	s_delay_alu instid0(VALU_DEP_1) | instskip(NEXT) | instid1(VALU_DEP_1)
	v_fma_f64 v[20:21], v[20:21], v[22:23], v[20:21]
	v_fma_f64 v[22:23], -v[18:19], v[20:21], 1.0
	s_delay_alu instid0(VALU_DEP_1) | instskip(SKIP_1) | instid1(VALU_DEP_1)
	v_fma_f64 v[20:21], v[20:21], v[22:23], v[20:21]
	v_div_scale_f64 v[22:23], vcc_lo, v[4:5], v[2:3], v[4:5]
	v_mul_f64_e32 v[24:25], v[22:23], v[20:21]
	s_delay_alu instid0(VALU_DEP_1) | instskip(SKIP_1) | instid1(VALU_DEP_1)
	v_fma_f64 v[18:19], -v[18:19], v[24:25], v[22:23]
	s_wait_alu 0xfffd
	v_div_fmas_f64 v[18:19], v[18:19], v[20:21], v[24:25]
	s_delay_alu instid0(VALU_DEP_1)
	v_div_fixup_f64 v[4:5], v[18:19], v[2:3], v[4:5]
	s_branch .LBB33_11
.LBB33_14:
	s_endpgm
	.section	.rodata,"a",@progbits
	.p2align	6, 0x0
	.amdhsa_kernel _ZN2at6native12_GLOBAL__N_131cdist_backward_kernel_cuda_implIdNS1_5distsIdE3twoEEEvPT_PKS6_S9_S9_S9_S6_lllllll
		.amdhsa_group_segment_fixed_size 0
		.amdhsa_private_segment_fixed_size 0
		.amdhsa_kernarg_size 360
		.amdhsa_user_sgpr_count 2
		.amdhsa_user_sgpr_dispatch_ptr 0
		.amdhsa_user_sgpr_queue_ptr 0
		.amdhsa_user_sgpr_kernarg_segment_ptr 1
		.amdhsa_user_sgpr_dispatch_id 0
		.amdhsa_user_sgpr_private_segment_size 0
		.amdhsa_wavefront_size32 1
		.amdhsa_uses_dynamic_stack 0
		.amdhsa_enable_private_segment 0
		.amdhsa_system_sgpr_workgroup_id_x 1
		.amdhsa_system_sgpr_workgroup_id_y 1
		.amdhsa_system_sgpr_workgroup_id_z 1
		.amdhsa_system_sgpr_workgroup_info 0
		.amdhsa_system_vgpr_workitem_id 1
		.amdhsa_next_free_vgpr 26
		.amdhsa_next_free_sgpr 32
		.amdhsa_reserve_vcc 1
		.amdhsa_float_round_mode_32 0
		.amdhsa_float_round_mode_16_64 0
		.amdhsa_float_denorm_mode_32 3
		.amdhsa_float_denorm_mode_16_64 3
		.amdhsa_fp16_overflow 0
		.amdhsa_workgroup_processor_mode 1
		.amdhsa_memory_ordered 1
		.amdhsa_forward_progress 1
		.amdhsa_inst_pref_size 24
		.amdhsa_round_robin_scheduling 0
		.amdhsa_exception_fp_ieee_invalid_op 0
		.amdhsa_exception_fp_denorm_src 0
		.amdhsa_exception_fp_ieee_div_zero 0
		.amdhsa_exception_fp_ieee_overflow 0
		.amdhsa_exception_fp_ieee_underflow 0
		.amdhsa_exception_fp_ieee_inexact 0
		.amdhsa_exception_int_div_zero 0
	.end_amdhsa_kernel
	.section	.text._ZN2at6native12_GLOBAL__N_131cdist_backward_kernel_cuda_implIdNS1_5distsIdE3twoEEEvPT_PKS6_S9_S9_S9_S6_lllllll,"axG",@progbits,_ZN2at6native12_GLOBAL__N_131cdist_backward_kernel_cuda_implIdNS1_5distsIdE3twoEEEvPT_PKS6_S9_S9_S9_S6_lllllll,comdat
.Lfunc_end33:
	.size	_ZN2at6native12_GLOBAL__N_131cdist_backward_kernel_cuda_implIdNS1_5distsIdE3twoEEEvPT_PKS6_S9_S9_S9_S6_lllllll, .Lfunc_end33-_ZN2at6native12_GLOBAL__N_131cdist_backward_kernel_cuda_implIdNS1_5distsIdE3twoEEEvPT_PKS6_S9_S9_S9_S6_lllllll
                                        ; -- End function
	.set _ZN2at6native12_GLOBAL__N_131cdist_backward_kernel_cuda_implIdNS1_5distsIdE3twoEEEvPT_PKS6_S9_S9_S9_S6_lllllll.num_vgpr, 26
	.set _ZN2at6native12_GLOBAL__N_131cdist_backward_kernel_cuda_implIdNS1_5distsIdE3twoEEEvPT_PKS6_S9_S9_S9_S6_lllllll.num_agpr, 0
	.set _ZN2at6native12_GLOBAL__N_131cdist_backward_kernel_cuda_implIdNS1_5distsIdE3twoEEEvPT_PKS6_S9_S9_S9_S6_lllllll.numbered_sgpr, 32
	.set _ZN2at6native12_GLOBAL__N_131cdist_backward_kernel_cuda_implIdNS1_5distsIdE3twoEEEvPT_PKS6_S9_S9_S9_S6_lllllll.num_named_barrier, 0
	.set _ZN2at6native12_GLOBAL__N_131cdist_backward_kernel_cuda_implIdNS1_5distsIdE3twoEEEvPT_PKS6_S9_S9_S9_S6_lllllll.private_seg_size, 0
	.set _ZN2at6native12_GLOBAL__N_131cdist_backward_kernel_cuda_implIdNS1_5distsIdE3twoEEEvPT_PKS6_S9_S9_S9_S6_lllllll.uses_vcc, 1
	.set _ZN2at6native12_GLOBAL__N_131cdist_backward_kernel_cuda_implIdNS1_5distsIdE3twoEEEvPT_PKS6_S9_S9_S9_S6_lllllll.uses_flat_scratch, 0
	.set _ZN2at6native12_GLOBAL__N_131cdist_backward_kernel_cuda_implIdNS1_5distsIdE3twoEEEvPT_PKS6_S9_S9_S9_S6_lllllll.has_dyn_sized_stack, 0
	.set _ZN2at6native12_GLOBAL__N_131cdist_backward_kernel_cuda_implIdNS1_5distsIdE3twoEEEvPT_PKS6_S9_S9_S9_S6_lllllll.has_recursion, 0
	.set _ZN2at6native12_GLOBAL__N_131cdist_backward_kernel_cuda_implIdNS1_5distsIdE3twoEEEvPT_PKS6_S9_S9_S9_S6_lllllll.has_indirect_call, 0
	.section	.AMDGPU.csdata,"",@progbits
; Kernel info:
; codeLenInByte = 3056
; TotalNumSgprs: 34
; NumVgprs: 26
; ScratchSize: 0
; MemoryBound: 0
; FloatMode: 240
; IeeeMode: 1
; LDSByteSize: 0 bytes/workgroup (compile time only)
; SGPRBlocks: 0
; VGPRBlocks: 3
; NumSGPRsForWavesPerEU: 34
; NumVGPRsForWavesPerEU: 26
; Occupancy: 16
; WaveLimiterHint : 0
; COMPUTE_PGM_RSRC2:SCRATCH_EN: 0
; COMPUTE_PGM_RSRC2:USER_SGPR: 2
; COMPUTE_PGM_RSRC2:TRAP_HANDLER: 0
; COMPUTE_PGM_RSRC2:TGID_X_EN: 1
; COMPUTE_PGM_RSRC2:TGID_Y_EN: 1
; COMPUTE_PGM_RSRC2:TGID_Z_EN: 1
; COMPUTE_PGM_RSRC2:TIDIG_COMP_CNT: 1
	.section	.text._ZN2at6native12_GLOBAL__N_131cdist_backward_kernel_cuda_implIdNS1_5distsIdE3infEEEvPT_PKS6_S9_S9_S9_S6_lllllll,"axG",@progbits,_ZN2at6native12_GLOBAL__N_131cdist_backward_kernel_cuda_implIdNS1_5distsIdE3infEEEvPT_PKS6_S9_S9_S9_S6_lllllll,comdat
	.globl	_ZN2at6native12_GLOBAL__N_131cdist_backward_kernel_cuda_implIdNS1_5distsIdE3infEEEvPT_PKS6_S9_S9_S9_S6_lllllll ; -- Begin function _ZN2at6native12_GLOBAL__N_131cdist_backward_kernel_cuda_implIdNS1_5distsIdE3infEEEvPT_PKS6_S9_S9_S9_S6_lllllll
	.p2align	8
	.type	_ZN2at6native12_GLOBAL__N_131cdist_backward_kernel_cuda_implIdNS1_5distsIdE3infEEEvPT_PKS6_S9_S9_S9_S6_lllllll,@function
_ZN2at6native12_GLOBAL__N_131cdist_backward_kernel_cuda_implIdNS1_5distsIdE3infEEEvPT_PKS6_S9_S9_S9_S6_lllllll: ; @_ZN2at6native12_GLOBAL__N_131cdist_backward_kernel_cuda_implIdNS1_5distsIdE3infEEEvPT_PKS6_S9_S9_S9_S6_lllllll
; %bb.0:
	s_clause 0x1
	s_load_b64 s[2:3], s[0:1], 0x70
	s_load_b256 s[4:11], s[0:1], 0x30
	s_and_b32 s12, ttmp7, 0xffff
	v_bfe_u32 v1, v0, 10, 10
	s_lshr_b32 s13, ttmp7, 16
	s_wait_kmcnt 0x0
	s_mul_i32 s2, s2, s12
	s_lshr_b32 s12, s3, 16
	s_add_co_i32 s2, s2, s13
	s_delay_alu instid0(SALU_CYCLE_1) | instskip(SKIP_2) | instid1(VALU_DEP_1)
	v_mad_co_u64_u32 v[2:3], null, s2, s12, v[1:2]
	s_mov_b32 s2, exec_lo
	v_ashrrev_i32_e32 v3, 31, v2
	v_cmpx_gt_i64_e64 s[10:11], v[2:3]
	s_cbranch_execz .LBB34_12
; %bb.1:
	v_and_b32_e32 v0, 0x3ff, v0
	s_and_b32 s3, s3, 0xffff
	s_load_b256 s[12:19], s[0:1], 0x50
	s_delay_alu instid0(VALU_DEP_1) | instskip(NEXT) | instid1(VALU_DEP_1)
	v_mad_co_u64_u32 v[0:1], null, ttmp9, s3, v[0:1]
	v_ashrrev_i32_e32 v1, 31, v0
	s_delay_alu instid0(VALU_DEP_1)
	v_cmp_gt_i64_e32 vcc_lo, s[8:9], v[0:1]
	s_and_b32 exec_lo, exec_lo, vcc_lo
	s_cbranch_execz .LBB34_12
; %bb.2:
	s_wait_kmcnt 0x0
	v_or_b32_e32 v5, s13, v3
	v_mov_b32_e32 v4, 0
	s_delay_alu instid0(VALU_DEP_1)
	v_cmp_ne_u64_e32 vcc_lo, 0, v[4:5]
                                        ; implicit-def: $vgpr4_vgpr5
	s_and_saveexec_b32 s2, vcc_lo
	s_wait_alu 0xfffe
	s_xor_b32 s20, exec_lo, s2
	s_cbranch_execz .LBB34_4
; %bb.3:
	s_ashr_i32 s10, s13, 31
	s_mov_b32 s29, 0
	s_wait_alu 0xfffe
	s_mov_b32 s11, s10
	v_ashrrev_i32_e32 v10, 31, v3
	s_wait_alu 0xfffe
	s_add_nc_u64 s[18:19], s[12:13], s[10:11]
	s_delay_alu instid0(SALU_CYCLE_1) | instskip(NEXT) | instid1(VALU_DEP_1)
	s_xor_b64 s[18:19], s[18:19], s[10:11]
	v_add_co_u32 v4, vcc_lo, v2, v10
	s_cvt_f32_u32 s2, s18
	s_cvt_f32_u32 s11, s19
	s_sub_nc_u64 s[24:25], 0, s[18:19]
	v_add_co_ci_u32_e64 v5, null, v3, v10, vcc_lo
	s_wait_alu 0xfffe
	s_fmamk_f32 s2, s11, 0x4f800000, s2
	v_xor_b32_e32 v11, v4, v10
	s_delay_alu instid0(VALU_DEP_2) | instskip(SKIP_2) | instid1(TRANS32_DEP_1)
	v_xor_b32_e32 v12, v5, v10
	s_wait_alu 0xfffe
	v_s_rcp_f32 s2, s2
	s_mul_f32 s2, s2, 0x5f7ffffc
	s_wait_alu 0xfffe
	s_delay_alu instid0(SALU_CYCLE_2) | instskip(SKIP_1) | instid1(SALU_CYCLE_2)
	s_mul_f32 s11, s2, 0x2f800000
	s_wait_alu 0xfffe
	s_trunc_f32 s11, s11
	s_wait_alu 0xfffe
	s_delay_alu instid0(SALU_CYCLE_2) | instskip(SKIP_2) | instid1(SALU_CYCLE_1)
	s_fmamk_f32 s2, s11, 0xcf800000, s2
	s_cvt_u32_f32 s23, s11
	s_wait_alu 0xfffe
	s_cvt_u32_f32 s22, s2
	s_delay_alu instid0(SALU_CYCLE_3) | instskip(NEXT) | instid1(SALU_CYCLE_1)
	s_mul_u64 s[26:27], s[24:25], s[22:23]
	s_mul_hi_u32 s31, s22, s27
	s_mul_i32 s30, s22, s27
	s_mul_hi_u32 s28, s22, s26
	s_mul_i32 s11, s23, s26
	s_add_nc_u64 s[30:31], s[28:29], s[30:31]
	s_mul_hi_u32 s2, s23, s26
	s_mul_hi_u32 s21, s23, s27
	s_wait_alu 0xfffe
	s_add_co_u32 s11, s30, s11
	s_add_co_ci_u32 s28, s31, s2
	s_mul_i32 s26, s23, s27
	s_add_co_ci_u32 s27, s21, 0
	s_delay_alu instid0(SALU_CYCLE_1) | instskip(NEXT) | instid1(SALU_CYCLE_1)
	s_add_nc_u64 s[26:27], s[28:29], s[26:27]
	s_add_co_u32 s22, s22, s26
	s_cselect_b32 s2, -1, 0
	s_wait_alu 0xfffe
	s_cmp_lg_u32 s2, 0
	s_add_co_ci_u32 s23, s23, s27
	s_delay_alu instid0(SALU_CYCLE_1) | instskip(NEXT) | instid1(SALU_CYCLE_1)
	s_mul_u64 s[24:25], s[24:25], s[22:23]
	s_mul_hi_u32 s27, s22, s25
	s_mul_i32 s26, s22, s25
	s_mul_hi_u32 s28, s22, s24
	s_mul_i32 s11, s23, s24
	s_add_nc_u64 s[26:27], s[28:29], s[26:27]
	s_mul_hi_u32 s2, s23, s24
	s_mul_hi_u32 s21, s23, s25
	s_wait_alu 0xfffe
	s_add_co_u32 s11, s26, s11
	s_add_co_ci_u32 s28, s27, s2
	s_mul_i32 s24, s23, s25
	s_add_co_ci_u32 s25, s21, 0
	s_delay_alu instid0(SALU_CYCLE_1) | instskip(NEXT) | instid1(SALU_CYCLE_1)
	s_add_nc_u64 s[24:25], s[28:29], s[24:25]
	s_add_co_u32 s2, s22, s24
	s_cselect_b32 s11, -1, 0
	s_wait_alu 0xfffe
	v_mul_hi_u32 v13, v11, s2
	s_cmp_lg_u32 s11, 0
	v_mad_co_u64_u32 v[6:7], null, v12, s2, 0
	s_add_co_ci_u32 s11, s23, s25
	s_wait_alu 0xfffe
	v_mad_co_u64_u32 v[4:5], null, v11, s11, 0
	v_mad_co_u64_u32 v[8:9], null, v12, s11, 0
	s_delay_alu instid0(VALU_DEP_2) | instskip(SKIP_1) | instid1(VALU_DEP_3)
	v_add_co_u32 v4, vcc_lo, v13, v4
	s_wait_alu 0xfffd
	v_add_co_ci_u32_e64 v5, null, 0, v5, vcc_lo
	s_delay_alu instid0(VALU_DEP_2) | instskip(SKIP_1) | instid1(VALU_DEP_2)
	v_add_co_u32 v4, vcc_lo, v4, v6
	s_wait_alu 0xfffd
	v_add_co_ci_u32_e32 v4, vcc_lo, v5, v7, vcc_lo
	s_wait_alu 0xfffd
	v_add_co_ci_u32_e32 v5, vcc_lo, 0, v9, vcc_lo
	s_delay_alu instid0(VALU_DEP_2) | instskip(SKIP_1) | instid1(VALU_DEP_2)
	v_add_co_u32 v6, vcc_lo, v4, v8
	s_wait_alu 0xfffd
	v_add_co_ci_u32_e64 v7, null, 0, v5, vcc_lo
	s_delay_alu instid0(VALU_DEP_2) | instskip(SKIP_1) | instid1(VALU_DEP_3)
	v_mul_lo_u32 v8, s19, v6
	v_mad_co_u64_u32 v[4:5], null, s18, v6, 0
	v_mul_lo_u32 v9, s18, v7
	s_delay_alu instid0(VALU_DEP_2) | instskip(NEXT) | instid1(VALU_DEP_2)
	v_sub_co_u32 v4, vcc_lo, v11, v4
	v_add3_u32 v5, v5, v9, v8
	v_add_co_u32 v9, s2, v6, 2
	s_wait_alu 0xf1ff
	v_add_co_ci_u32_e64 v11, null, 0, v7, s2
	s_delay_alu instid0(VALU_DEP_3) | instskip(SKIP_3) | instid1(VALU_DEP_3)
	v_sub_nc_u32_e32 v8, v12, v5
	v_sub_co_u32 v13, s2, v4, s18
	s_wait_alu 0xfffd
	v_sub_co_ci_u32_e64 v5, null, v12, v5, vcc_lo
	v_subrev_co_ci_u32_e64 v8, null, s19, v8, vcc_lo
	s_delay_alu instid0(VALU_DEP_3) | instskip(SKIP_1) | instid1(VALU_DEP_2)
	v_cmp_le_u32_e32 vcc_lo, s18, v13
	s_wait_alu 0xf1ff
	v_subrev_co_ci_u32_e64 v8, null, 0, v8, s2
	s_wait_alu 0xfffd
	v_cndmask_b32_e64 v12, 0, -1, vcc_lo
	s_delay_alu instid0(VALU_DEP_2)
	v_cmp_le_u32_e32 vcc_lo, s19, v8
	s_wait_alu 0xfffd
	v_cndmask_b32_e64 v13, 0, -1, vcc_lo
	v_cmp_le_u32_e32 vcc_lo, s18, v4
	s_wait_alu 0xfffd
	v_cndmask_b32_e64 v4, 0, -1, vcc_lo
	v_cmp_le_u32_e32 vcc_lo, s19, v5
	s_wait_alu 0xfffd
	v_cndmask_b32_e64 v14, 0, -1, vcc_lo
	v_cmp_eq_u32_e32 vcc_lo, s19, v8
	s_wait_alu 0xfffd
	v_cndmask_b32_e32 v8, v13, v12, vcc_lo
	v_add_co_u32 v12, vcc_lo, v6, 1
	s_wait_alu 0xfffd
	v_add_co_ci_u32_e64 v13, null, 0, v7, vcc_lo
	v_cmp_eq_u32_e32 vcc_lo, s19, v5
	s_wait_alu 0xfffd
	v_cndmask_b32_e32 v4, v14, v4, vcc_lo
	v_cmp_ne_u32_e32 vcc_lo, 0, v8
	v_xor_b32_e32 v8, s10, v10
	s_wait_alu 0xfffd
	v_cndmask_b32_e32 v5, v13, v11, vcc_lo
	v_cmp_ne_u32_e64 s2, 0, v4
	v_cndmask_b32_e32 v4, v12, v9, vcc_lo
	s_wait_alu 0xf1ff
	s_delay_alu instid0(VALU_DEP_2) | instskip(NEXT) | instid1(VALU_DEP_2)
	v_cndmask_b32_e64 v5, v7, v5, s2
	v_cndmask_b32_e64 v4, v6, v4, s2
	s_delay_alu instid0(VALU_DEP_2) | instskip(NEXT) | instid1(VALU_DEP_2)
	v_xor_b32_e32 v5, v5, v8
	v_xor_b32_e32 v4, v4, v8
	s_delay_alu instid0(VALU_DEP_1) | instskip(SKIP_1) | instid1(VALU_DEP_3)
	v_sub_co_u32 v4, vcc_lo, v4, v8
	s_wait_alu 0xfffd
	v_sub_co_ci_u32_e64 v5, null, v5, v8, vcc_lo
.LBB34_4:
	s_and_not1_saveexec_b32 s2, s20
	s_cbranch_execz .LBB34_6
; %bb.5:
	v_cvt_f32_u32_e32 v4, s12
	s_sub_co_i32 s10, 0, s12
	s_delay_alu instid0(VALU_DEP_1) | instskip(NEXT) | instid1(TRANS32_DEP_1)
	v_rcp_iflag_f32_e32 v4, v4
	v_mul_f32_e32 v4, 0x4f7ffffe, v4
	s_delay_alu instid0(VALU_DEP_1) | instskip(SKIP_1) | instid1(VALU_DEP_1)
	v_cvt_u32_f32_e32 v4, v4
	s_wait_alu 0xfffe
	v_mul_lo_u32 v5, s10, v4
	s_delay_alu instid0(VALU_DEP_1) | instskip(NEXT) | instid1(VALU_DEP_1)
	v_mul_hi_u32 v5, v4, v5
	v_add_nc_u32_e32 v4, v4, v5
	s_delay_alu instid0(VALU_DEP_1) | instskip(NEXT) | instid1(VALU_DEP_1)
	v_mul_hi_u32 v4, v2, v4
	v_mul_lo_u32 v5, v4, s12
	v_add_nc_u32_e32 v6, 1, v4
	s_delay_alu instid0(VALU_DEP_2) | instskip(NEXT) | instid1(VALU_DEP_1)
	v_sub_nc_u32_e32 v5, v2, v5
	v_subrev_nc_u32_e32 v7, s12, v5
	v_cmp_le_u32_e32 vcc_lo, s12, v5
	s_wait_alu 0xfffd
	s_delay_alu instid0(VALU_DEP_2) | instskip(NEXT) | instid1(VALU_DEP_1)
	v_dual_cndmask_b32 v5, v5, v7 :: v_dual_cndmask_b32 v4, v4, v6
	v_cmp_le_u32_e32 vcc_lo, s12, v5
	s_delay_alu instid0(VALU_DEP_2) | instskip(SKIP_1) | instid1(VALU_DEP_1)
	v_dual_mov_b32 v5, 0 :: v_dual_add_nc_u32 v6, 1, v4
	s_wait_alu 0xfffd
	v_cndmask_b32_e32 v4, v4, v6, vcc_lo
.LBB34_6:
	s_wait_alu 0xfffe
	s_or_b32 exec_lo, exec_lo, s2
	v_mul_lo_u32 v7, v5, s12
	s_delay_alu instid0(VALU_DEP_2)
	v_mul_lo_u32 v8, v4, s13
	v_mad_co_u64_u32 v[5:6], null, v4, s12, 0
	s_add_nc_u64 s[10:11], s[0:1], 0x68
	s_mov_b32 s2, exec_lo
	v_add3_u32 v6, v6, v8, v7
	v_sub_co_u32 v10, vcc_lo, v2, v5
                                        ; implicit-def: $vgpr8_vgpr9
	s_wait_alu 0xfffd
	s_delay_alu instid0(VALU_DEP_2) | instskip(SKIP_1) | instid1(VALU_DEP_2)
	v_sub_co_ci_u32_e64 v11, null, v3, v6, vcc_lo
	v_mov_b32_e32 v6, 0
	v_or_b32_e32 v7, s7, v11
	s_delay_alu instid0(VALU_DEP_1)
	v_cmpx_ne_u64_e32 0, v[6:7]
	s_wait_alu 0xfffe
	s_xor_b32 s20, exec_lo, s2
	s_cbranch_execz .LBB34_8
; %bb.7:
	s_ashr_i32 s12, s7, 31
	s_mov_b32 s29, 0
	s_wait_alu 0xfffe
	s_mov_b32 s13, s12
	v_ashrrev_i32_e32 v14, 31, v11
	s_wait_alu 0xfffe
	s_add_nc_u64 s[18:19], s[6:7], s[12:13]
	s_wait_alu 0xfffe
	s_xor_b64 s[18:19], s[18:19], s[12:13]
	v_add_co_u32 v6, vcc_lo, v10, v14
	s_wait_alu 0xfffe
	s_cvt_f32_u32 s2, s18
	s_cvt_f32_u32 s13, s19
	s_sub_nc_u64 s[24:25], 0, s[18:19]
	s_wait_alu 0xfffd
	v_add_co_ci_u32_e64 v7, null, v11, v14, vcc_lo
	s_wait_alu 0xfffe
	s_fmamk_f32 s2, s13, 0x4f800000, s2
	v_xor_b32_e32 v15, v6, v14
	s_delay_alu instid0(VALU_DEP_2) | instskip(SKIP_2) | instid1(TRANS32_DEP_1)
	v_xor_b32_e32 v16, v7, v14
	s_wait_alu 0xfffe
	v_s_rcp_f32 s2, s2
	s_mul_f32 s2, s2, 0x5f7ffffc
	s_wait_alu 0xfffe
	s_delay_alu instid0(SALU_CYCLE_2) | instskip(SKIP_1) | instid1(SALU_CYCLE_2)
	s_mul_f32 s13, s2, 0x2f800000
	s_wait_alu 0xfffe
	s_trunc_f32 s13, s13
	s_wait_alu 0xfffe
	s_delay_alu instid0(SALU_CYCLE_2) | instskip(SKIP_2) | instid1(SALU_CYCLE_1)
	s_fmamk_f32 s2, s13, 0xcf800000, s2
	s_cvt_u32_f32 s23, s13
	s_wait_alu 0xfffe
	s_cvt_u32_f32 s22, s2
	s_delay_alu instid0(SALU_CYCLE_3) | instskip(NEXT) | instid1(SALU_CYCLE_1)
	s_mul_u64 s[26:27], s[24:25], s[22:23]
	s_mul_hi_u32 s31, s22, s27
	s_mul_i32 s30, s22, s27
	s_mul_hi_u32 s28, s22, s26
	s_mul_i32 s13, s23, s26
	s_add_nc_u64 s[30:31], s[28:29], s[30:31]
	s_mul_hi_u32 s2, s23, s26
	s_mul_hi_u32 s21, s23, s27
	s_wait_alu 0xfffe
	s_add_co_u32 s13, s30, s13
	s_add_co_ci_u32 s28, s31, s2
	s_mul_i32 s26, s23, s27
	s_add_co_ci_u32 s27, s21, 0
	s_delay_alu instid0(SALU_CYCLE_1) | instskip(NEXT) | instid1(SALU_CYCLE_1)
	s_add_nc_u64 s[26:27], s[28:29], s[26:27]
	s_add_co_u32 s22, s22, s26
	s_cselect_b32 s2, -1, 0
	s_wait_alu 0xfffe
	s_cmp_lg_u32 s2, 0
	s_add_co_ci_u32 s23, s23, s27
	s_delay_alu instid0(SALU_CYCLE_1) | instskip(NEXT) | instid1(SALU_CYCLE_1)
	s_mul_u64 s[24:25], s[24:25], s[22:23]
	s_mul_hi_u32 s27, s22, s25
	s_mul_i32 s26, s22, s25
	s_mul_hi_u32 s28, s22, s24
	s_mul_i32 s13, s23, s24
	s_add_nc_u64 s[26:27], s[28:29], s[26:27]
	s_mul_hi_u32 s2, s23, s24
	s_mul_hi_u32 s21, s23, s25
	s_wait_alu 0xfffe
	s_add_co_u32 s13, s26, s13
	s_add_co_ci_u32 s28, s27, s2
	s_mul_i32 s24, s23, s25
	s_add_co_ci_u32 s25, s21, 0
	s_delay_alu instid0(SALU_CYCLE_1) | instskip(NEXT) | instid1(SALU_CYCLE_1)
	s_add_nc_u64 s[24:25], s[28:29], s[24:25]
	s_add_co_u32 s2, s22, s24
	s_cselect_b32 s13, -1, 0
	s_wait_alu 0xfffe
	v_mul_hi_u32 v17, v15, s2
	s_cmp_lg_u32 s13, 0
	v_mad_co_u64_u32 v[8:9], null, v16, s2, 0
	s_add_co_ci_u32 s13, s23, s25
	s_wait_alu 0xfffe
	v_mad_co_u64_u32 v[6:7], null, v15, s13, 0
	v_mad_co_u64_u32 v[12:13], null, v16, s13, 0
	s_delay_alu instid0(VALU_DEP_2) | instskip(SKIP_1) | instid1(VALU_DEP_3)
	v_add_co_u32 v6, vcc_lo, v17, v6
	s_wait_alu 0xfffd
	v_add_co_ci_u32_e64 v7, null, 0, v7, vcc_lo
	s_delay_alu instid0(VALU_DEP_2) | instskip(SKIP_1) | instid1(VALU_DEP_2)
	v_add_co_u32 v6, vcc_lo, v6, v8
	s_wait_alu 0xfffd
	v_add_co_ci_u32_e32 v6, vcc_lo, v7, v9, vcc_lo
	s_wait_alu 0xfffd
	v_add_co_ci_u32_e32 v7, vcc_lo, 0, v13, vcc_lo
	s_delay_alu instid0(VALU_DEP_2) | instskip(SKIP_1) | instid1(VALU_DEP_2)
	v_add_co_u32 v8, vcc_lo, v6, v12
	s_wait_alu 0xfffd
	v_add_co_ci_u32_e64 v9, null, 0, v7, vcc_lo
	s_delay_alu instid0(VALU_DEP_2) | instskip(SKIP_1) | instid1(VALU_DEP_3)
	v_mul_lo_u32 v12, s19, v8
	v_mad_co_u64_u32 v[6:7], null, s18, v8, 0
	v_mul_lo_u32 v13, s18, v9
	s_delay_alu instid0(VALU_DEP_2) | instskip(NEXT) | instid1(VALU_DEP_2)
	v_sub_co_u32 v6, vcc_lo, v15, v6
	v_add3_u32 v7, v7, v13, v12
	v_add_co_u32 v13, s2, v8, 2
	s_wait_alu 0xf1ff
	v_add_co_ci_u32_e64 v15, null, 0, v9, s2
	s_delay_alu instid0(VALU_DEP_3) | instskip(SKIP_3) | instid1(VALU_DEP_3)
	v_sub_nc_u32_e32 v12, v16, v7
	v_sub_co_u32 v17, s2, v6, s18
	s_wait_alu 0xfffd
	v_sub_co_ci_u32_e64 v7, null, v16, v7, vcc_lo
	v_subrev_co_ci_u32_e64 v12, null, s19, v12, vcc_lo
	s_delay_alu instid0(VALU_DEP_3) | instskip(SKIP_1) | instid1(VALU_DEP_2)
	v_cmp_le_u32_e32 vcc_lo, s18, v17
	s_wait_alu 0xf1ff
	v_subrev_co_ci_u32_e64 v12, null, 0, v12, s2
	s_wait_alu 0xfffd
	v_cndmask_b32_e64 v16, 0, -1, vcc_lo
	s_delay_alu instid0(VALU_DEP_2)
	v_cmp_le_u32_e32 vcc_lo, s19, v12
	s_wait_alu 0xfffd
	v_cndmask_b32_e64 v17, 0, -1, vcc_lo
	v_cmp_le_u32_e32 vcc_lo, s18, v6
	s_wait_alu 0xfffd
	v_cndmask_b32_e64 v6, 0, -1, vcc_lo
	;; [unrolled: 3-line block ×3, first 2 shown]
	v_cmp_eq_u32_e32 vcc_lo, s19, v12
	s_wait_alu 0xfffd
	v_cndmask_b32_e32 v12, v17, v16, vcc_lo
	v_add_co_u32 v16, vcc_lo, v8, 1
	s_wait_alu 0xfffd
	v_add_co_ci_u32_e64 v17, null, 0, v9, vcc_lo
	v_cmp_eq_u32_e32 vcc_lo, s19, v7
	s_wait_alu 0xfffd
	v_cndmask_b32_e32 v6, v18, v6, vcc_lo
	v_cmp_ne_u32_e32 vcc_lo, 0, v12
	v_xor_b32_e32 v12, s12, v14
	s_wait_alu 0xfffd
	v_cndmask_b32_e32 v7, v17, v15, vcc_lo
	v_cmp_ne_u32_e64 s2, 0, v6
	v_cndmask_b32_e32 v6, v16, v13, vcc_lo
	s_wait_alu 0xf1ff
	s_delay_alu instid0(VALU_DEP_2) | instskip(NEXT) | instid1(VALU_DEP_2)
	v_cndmask_b32_e64 v7, v9, v7, s2
	v_cndmask_b32_e64 v6, v8, v6, s2
	s_delay_alu instid0(VALU_DEP_2) | instskip(NEXT) | instid1(VALU_DEP_2)
	v_xor_b32_e32 v7, v7, v12
	v_xor_b32_e32 v6, v6, v12
	s_delay_alu instid0(VALU_DEP_1) | instskip(SKIP_1) | instid1(VALU_DEP_3)
	v_sub_co_u32 v8, vcc_lo, v6, v12
	s_wait_alu 0xfffd
	v_sub_co_ci_u32_e64 v9, null, v7, v12, vcc_lo
.LBB34_8:
	s_or_saveexec_b32 s12, s20
	s_load_b32 s2, s[10:11], 0x0
	s_xor_b32 exec_lo, exec_lo, s12
	s_cbranch_execz .LBB34_10
; %bb.9:
	v_cvt_f32_u32_e32 v6, s6
	s_sub_co_i32 s10, 0, s6
	s_delay_alu instid0(VALU_DEP_1) | instskip(NEXT) | instid1(TRANS32_DEP_1)
	v_rcp_iflag_f32_e32 v6, v6
	v_mul_f32_e32 v6, 0x4f7ffffe, v6
	s_delay_alu instid0(VALU_DEP_1) | instskip(SKIP_1) | instid1(VALU_DEP_1)
	v_cvt_u32_f32_e32 v6, v6
	s_wait_alu 0xfffe
	v_mul_lo_u32 v7, s10, v6
	s_delay_alu instid0(VALU_DEP_1) | instskip(NEXT) | instid1(VALU_DEP_1)
	v_mul_hi_u32 v7, v6, v7
	v_add_nc_u32_e32 v6, v6, v7
	s_delay_alu instid0(VALU_DEP_1) | instskip(NEXT) | instid1(VALU_DEP_1)
	v_mul_hi_u32 v6, v10, v6
	v_mul_lo_u32 v7, v6, s6
	v_add_nc_u32_e32 v8, 1, v6
	s_delay_alu instid0(VALU_DEP_2) | instskip(NEXT) | instid1(VALU_DEP_1)
	v_sub_nc_u32_e32 v7, v10, v7
	v_subrev_nc_u32_e32 v9, s6, v7
	v_cmp_le_u32_e32 vcc_lo, s6, v7
	s_wait_alu 0xfffd
	s_delay_alu instid0(VALU_DEP_2) | instskip(SKIP_1) | instid1(VALU_DEP_2)
	v_dual_cndmask_b32 v7, v7, v9 :: v_dual_cndmask_b32 v6, v6, v8
	v_mov_b32_e32 v9, 0
	v_cmp_le_u32_e32 vcc_lo, s6, v7
	s_delay_alu instid0(VALU_DEP_3) | instskip(SKIP_1) | instid1(VALU_DEP_1)
	v_add_nc_u32_e32 v8, 1, v6
	s_wait_alu 0xfffd
	v_cndmask_b32_e32 v8, v6, v8, vcc_lo
.LBB34_10:
	s_or_b32 exec_lo, exec_lo, s12
	s_clause 0x1
	s_load_b256 s[20:27], s[0:1], 0x0
	s_load_b64 s[0:1], s[0:1], 0x20
	v_lshlrev_b64_e32 v[2:3], 3, v[2:3]
	v_ashrrev_i32_e32 v18, 31, v4
	v_mul_lo_u32 v23, v9, s6
	v_mul_lo_u32 v24, v8, s7
	v_mad_co_u64_u32 v[14:15], null, v8, s6, 0
	v_mul_lo_u32 v19, v4, s15
	v_mul_lo_u32 v20, v18, s14
	;; [unrolled: 1-line block ×4, first 2 shown]
	v_mad_co_u64_u32 v[16:17], null, v8, s8, 0
	v_add3_u32 v15, v15, v24, v23
	v_mul_lo_u32 v24, v4, s17
	v_mul_lo_u32 v25, v18, s16
	v_lshlrev_b64_e32 v[0:1], 3, v[0:1]
	s_wait_kmcnt 0x0
	s_mul_i32 s2, s2, s3
	v_add3_u32 v17, v17, v22, v21
	v_add_co_u32 v6, vcc_lo, s22, v2
	s_wait_alu 0xfffd
	v_add_co_ci_u32_e64 v7, null, s23, v3, vcc_lo
	v_add_co_u32 v12, vcc_lo, s0, v2
	s_wait_alu 0xfffd
	v_add_co_ci_u32_e64 v13, null, s1, v3, vcc_lo
	global_load_b64 v[2:3], v[6:7], off
	global_load_b64 v[6:7], v[12:13], off
	v_mad_co_u64_u32 v[12:13], null, v4, s14, 0
	s_lshl_b64 s[0:1], s[8:9], 3
	s_wait_alu 0xfffe
	s_ashr_i32 s3, s2, 31
	s_wait_alu 0xfffe
	s_lshl_b64 s[2:3], s[2:3], 3
	v_add3_u32 v13, v13, v19, v20
	v_sub_co_u32 v20, vcc_lo, v10, v14
	s_wait_alu 0xfffd
	v_sub_co_ci_u32_e64 v21, null, v11, v15, vcc_lo
	s_delay_alu instid0(VALU_DEP_3) | instskip(SKIP_2) | instid1(VALU_DEP_4)
	v_lshlrev_b64_e32 v[10:11], 3, v[12:13]
	v_lshlrev_b64_e32 v[12:13], 3, v[16:17]
	v_mul_lo_u32 v19, v20, s5
	v_mul_lo_u32 v22, v21, s4
	v_mad_co_u64_u32 v[16:17], null, v20, s4, v[8:9]
	v_add_co_u32 v8, vcc_lo, s24, v10
	s_wait_alu 0xfffd
	v_add_co_ci_u32_e64 v9, null, s25, v11, vcc_lo
	v_mul_lo_u32 v11, s8, v5
	v_mad_co_u64_u32 v[4:5], null, v4, s16, 0
	v_add3_u32 v10, v22, v17, v19
	v_mul_lo_u32 v23, v16, s9
	v_mad_co_u64_u32 v[16:17], null, v16, s8, 0
	v_add_co_u32 v14, vcc_lo, v8, v12
	s_delay_alu instid0(VALU_DEP_4) | instskip(SKIP_4) | instid1(VALU_DEP_3)
	v_mul_lo_u32 v22, v10, s8
	v_mov_b32_e32 v10, 0
	s_wait_alu 0xfffd
	v_add_co_ci_u32_e64 v15, null, v9, v13, vcc_lo
	v_add_co_u32 v8, vcc_lo, v14, s0
	v_ashrrev_i64 v[18:19], 29, v[10:11]
	v_mul_lo_u32 v11, v21, s8
	v_add3_u32 v17, v17, v23, v22
	v_mul_lo_u32 v22, v20, s9
	v_mad_co_u64_u32 v[20:21], null, v20, s8, 0
	v_add3_u32 v5, v5, v24, v25
	s_wait_alu 0xfffd
	v_add_co_ci_u32_e64 v9, null, s1, v15, vcc_lo
	v_add_co_u32 v12, vcc_lo, v14, v0
	v_lshlrev_b64_e32 v[16:17], 3, v[16:17]
	s_wait_alu 0xfffd
	v_add_co_ci_u32_e64 v13, null, v15, v1, vcc_lo
	v_add_co_u32 v23, vcc_lo, s20, v18
	s_wait_alu 0xfffd
	v_add_co_ci_u32_e64 v24, null, s21, v19, vcc_lo
	v_lshlrev_b64_e32 v[18:19], 3, v[4:5]
	v_add3_u32 v21, v21, v22, v11
	v_add_co_u32 v4, vcc_lo, v23, v16
	s_wait_alu 0xfffd
	v_add_co_ci_u32_e64 v5, null, v24, v17, vcc_lo
	s_delay_alu instid0(VALU_DEP_3)
	v_lshlrev_b64_e32 v[16:17], 3, v[20:21]
	v_add_co_u32 v11, vcc_lo, s26, v18
	s_wait_alu 0xfffd
	v_add_co_ci_u32_e64 v18, null, s27, v19, vcc_lo
	s_mov_b32 s1, 0
	v_add_co_u32 v16, vcc_lo, v11, v16
	s_wait_alu 0xfffd
	v_add_co_ci_u32_e64 v17, null, v18, v17, vcc_lo
.LBB34_11:                              ; =>This Inner Loop Header: Depth=1
	v_add_co_u32 v18, vcc_lo, v14, v0
	s_wait_alu 0xfffd
	v_add_co_ci_u32_e64 v19, null, v15, v1, vcc_lo
	v_add_co_u32 v20, vcc_lo, v16, v0
	s_wait_alu 0xfffd
	v_add_co_ci_u32_e64 v21, null, v17, v1, vcc_lo
	global_load_b64 v[18:19], v[18:19], off
	global_load_b64 v[20:21], v[20:21], off
	s_wait_loadcnt 0x0
	v_add_f64_e64 v[18:19], v[18:19], -v[20:21]
	s_delay_alu instid0(VALU_DEP_1)
	v_cmp_lt_f64_e32 vcc_lo, 0, v[18:19]
	v_cmp_eq_f64_e64 s0, |v[18:19]|, v[6:7]
	s_wait_alu 0xfffd
	v_cndmask_b32_e64 v11, 0, 1, vcc_lo
	v_cmp_gt_f64_e32 vcc_lo, 0, v[18:19]
	s_wait_alu 0xfffd
	s_delay_alu instid0(VALU_DEP_2)
	v_subrev_co_ci_u32_e64 v11, null, 0, v11, vcc_lo
	s_wait_alu 0xfffe
	v_add_co_u32 v12, vcc_lo, v12, s2
	s_wait_alu 0xfffd
	v_add_co_ci_u32_e64 v13, null, s3, v13, vcc_lo
	v_cvt_f64_i32_e32 v[20:21], v11
	s_wait_alu 0xf1ff
	v_cndmask_b32_e64 v11, 0, 0x3ff00000, s0
	s_delay_alu instid0(VALU_DEP_2) | instskip(NEXT) | instid1(VALU_DEP_1)
	v_mul_f64_e32 v[20:21], v[2:3], v[20:21]
	v_mul_f64_e32 v[18:19], v[20:21], v[10:11]
	v_add_co_u32 v20, vcc_lo, v4, v0
	s_wait_alu 0xfffd
	v_add_co_ci_u32_e64 v21, null, v5, v1, vcc_lo
	v_cmp_ge_u64_e32 vcc_lo, v[12:13], v[8:9]
	v_add_co_u32 v0, s0, v0, s2
	s_wait_alu 0xf1ff
	v_add_co_ci_u32_e64 v1, null, s3, v1, s0
	s_or_b32 s1, vcc_lo, s1
	global_store_b64 v[20:21], v[18:19], off
	s_wait_alu 0xfffe
	s_and_not1_b32 exec_lo, exec_lo, s1
	s_cbranch_execnz .LBB34_11
.LBB34_12:
	s_endpgm
	.section	.rodata,"a",@progbits
	.p2align	6, 0x0
	.amdhsa_kernel _ZN2at6native12_GLOBAL__N_131cdist_backward_kernel_cuda_implIdNS1_5distsIdE3infEEEvPT_PKS6_S9_S9_S9_S6_lllllll
		.amdhsa_group_segment_fixed_size 0
		.amdhsa_private_segment_fixed_size 0
		.amdhsa_kernarg_size 360
		.amdhsa_user_sgpr_count 2
		.amdhsa_user_sgpr_dispatch_ptr 0
		.amdhsa_user_sgpr_queue_ptr 0
		.amdhsa_user_sgpr_kernarg_segment_ptr 1
		.amdhsa_user_sgpr_dispatch_id 0
		.amdhsa_user_sgpr_private_segment_size 0
		.amdhsa_wavefront_size32 1
		.amdhsa_uses_dynamic_stack 0
		.amdhsa_enable_private_segment 0
		.amdhsa_system_sgpr_workgroup_id_x 1
		.amdhsa_system_sgpr_workgroup_id_y 1
		.amdhsa_system_sgpr_workgroup_id_z 1
		.amdhsa_system_sgpr_workgroup_info 0
		.amdhsa_system_vgpr_workitem_id 1
		.amdhsa_next_free_vgpr 26
		.amdhsa_next_free_sgpr 32
		.amdhsa_reserve_vcc 1
		.amdhsa_float_round_mode_32 0
		.amdhsa_float_round_mode_16_64 0
		.amdhsa_float_denorm_mode_32 3
		.amdhsa_float_denorm_mode_16_64 3
		.amdhsa_fp16_overflow 0
		.amdhsa_workgroup_processor_mode 1
		.amdhsa_memory_ordered 1
		.amdhsa_forward_progress 1
		.amdhsa_inst_pref_size 24
		.amdhsa_round_robin_scheduling 0
		.amdhsa_exception_fp_ieee_invalid_op 0
		.amdhsa_exception_fp_denorm_src 0
		.amdhsa_exception_fp_ieee_div_zero 0
		.amdhsa_exception_fp_ieee_overflow 0
		.amdhsa_exception_fp_ieee_underflow 0
		.amdhsa_exception_fp_ieee_inexact 0
		.amdhsa_exception_int_div_zero 0
	.end_amdhsa_kernel
	.section	.text._ZN2at6native12_GLOBAL__N_131cdist_backward_kernel_cuda_implIdNS1_5distsIdE3infEEEvPT_PKS6_S9_S9_S9_S6_lllllll,"axG",@progbits,_ZN2at6native12_GLOBAL__N_131cdist_backward_kernel_cuda_implIdNS1_5distsIdE3infEEEvPT_PKS6_S9_S9_S9_S6_lllllll,comdat
.Lfunc_end34:
	.size	_ZN2at6native12_GLOBAL__N_131cdist_backward_kernel_cuda_implIdNS1_5distsIdE3infEEEvPT_PKS6_S9_S9_S9_S6_lllllll, .Lfunc_end34-_ZN2at6native12_GLOBAL__N_131cdist_backward_kernel_cuda_implIdNS1_5distsIdE3infEEEvPT_PKS6_S9_S9_S9_S6_lllllll
                                        ; -- End function
	.set _ZN2at6native12_GLOBAL__N_131cdist_backward_kernel_cuda_implIdNS1_5distsIdE3infEEEvPT_PKS6_S9_S9_S9_S6_lllllll.num_vgpr, 26
	.set _ZN2at6native12_GLOBAL__N_131cdist_backward_kernel_cuda_implIdNS1_5distsIdE3infEEEvPT_PKS6_S9_S9_S9_S6_lllllll.num_agpr, 0
	.set _ZN2at6native12_GLOBAL__N_131cdist_backward_kernel_cuda_implIdNS1_5distsIdE3infEEEvPT_PKS6_S9_S9_S9_S6_lllllll.numbered_sgpr, 32
	.set _ZN2at6native12_GLOBAL__N_131cdist_backward_kernel_cuda_implIdNS1_5distsIdE3infEEEvPT_PKS6_S9_S9_S9_S6_lllllll.num_named_barrier, 0
	.set _ZN2at6native12_GLOBAL__N_131cdist_backward_kernel_cuda_implIdNS1_5distsIdE3infEEEvPT_PKS6_S9_S9_S9_S6_lllllll.private_seg_size, 0
	.set _ZN2at6native12_GLOBAL__N_131cdist_backward_kernel_cuda_implIdNS1_5distsIdE3infEEEvPT_PKS6_S9_S9_S9_S6_lllllll.uses_vcc, 1
	.set _ZN2at6native12_GLOBAL__N_131cdist_backward_kernel_cuda_implIdNS1_5distsIdE3infEEEvPT_PKS6_S9_S9_S9_S6_lllllll.uses_flat_scratch, 0
	.set _ZN2at6native12_GLOBAL__N_131cdist_backward_kernel_cuda_implIdNS1_5distsIdE3infEEEvPT_PKS6_S9_S9_S9_S6_lllllll.has_dyn_sized_stack, 0
	.set _ZN2at6native12_GLOBAL__N_131cdist_backward_kernel_cuda_implIdNS1_5distsIdE3infEEEvPT_PKS6_S9_S9_S9_S6_lllllll.has_recursion, 0
	.set _ZN2at6native12_GLOBAL__N_131cdist_backward_kernel_cuda_implIdNS1_5distsIdE3infEEEvPT_PKS6_S9_S9_S9_S6_lllllll.has_indirect_call, 0
	.section	.AMDGPU.csdata,"",@progbits
; Kernel info:
; codeLenInByte = 2968
; TotalNumSgprs: 34
; NumVgprs: 26
; ScratchSize: 0
; MemoryBound: 0
; FloatMode: 240
; IeeeMode: 1
; LDSByteSize: 0 bytes/workgroup (compile time only)
; SGPRBlocks: 0
; VGPRBlocks: 3
; NumSGPRsForWavesPerEU: 34
; NumVGPRsForWavesPerEU: 26
; Occupancy: 16
; WaveLimiterHint : 0
; COMPUTE_PGM_RSRC2:SCRATCH_EN: 0
; COMPUTE_PGM_RSRC2:USER_SGPR: 2
; COMPUTE_PGM_RSRC2:TRAP_HANDLER: 0
; COMPUTE_PGM_RSRC2:TGID_X_EN: 1
; COMPUTE_PGM_RSRC2:TGID_Y_EN: 1
; COMPUTE_PGM_RSRC2:TGID_Z_EN: 1
; COMPUTE_PGM_RSRC2:TIDIG_COMP_CNT: 1
	.section	.text._ZN2at6native12_GLOBAL__N_131cdist_backward_kernel_cuda_implIfNS1_5distsIfE1pEEEvPT_PKS6_S9_S9_S9_S6_lllllll,"axG",@progbits,_ZN2at6native12_GLOBAL__N_131cdist_backward_kernel_cuda_implIfNS1_5distsIfE1pEEEvPT_PKS6_S9_S9_S9_S6_lllllll,comdat
	.globl	_ZN2at6native12_GLOBAL__N_131cdist_backward_kernel_cuda_implIfNS1_5distsIfE1pEEEvPT_PKS6_S9_S9_S9_S6_lllllll ; -- Begin function _ZN2at6native12_GLOBAL__N_131cdist_backward_kernel_cuda_implIfNS1_5distsIfE1pEEEvPT_PKS6_S9_S9_S9_S6_lllllll
	.p2align	8
	.type	_ZN2at6native12_GLOBAL__N_131cdist_backward_kernel_cuda_implIfNS1_5distsIfE1pEEEvPT_PKS6_S9_S9_S9_S6_lllllll,@function
_ZN2at6native12_GLOBAL__N_131cdist_backward_kernel_cuda_implIfNS1_5distsIfE1pEEEvPT_PKS6_S9_S9_S9_S6_lllllll: ; @_ZN2at6native12_GLOBAL__N_131cdist_backward_kernel_cuda_implIfNS1_5distsIfE1pEEEvPT_PKS6_S9_S9_S9_S6_lllllll
; %bb.0:
	s_clause 0x1
	s_load_b64 s[2:3], s[0:1], 0x70
	s_load_b256 s[4:11], s[0:1], 0x30
	s_and_b32 s12, ttmp7, 0xffff
	v_bfe_u32 v1, v0, 10, 10
	s_lshr_b32 s13, ttmp7, 16
	s_wait_kmcnt 0x0
	s_mul_i32 s2, s2, s12
	s_lshr_b32 s12, s3, 16
	s_add_co_i32 s2, s2, s13
	s_delay_alu instid0(SALU_CYCLE_1) | instskip(SKIP_2) | instid1(VALU_DEP_1)
	v_mad_co_u64_u32 v[4:5], null, s2, s12, v[1:2]
	s_mov_b32 s2, exec_lo
	v_ashrrev_i32_e32 v5, 31, v4
	v_cmpx_gt_i64_e64 s[10:11], v[4:5]
	s_cbranch_execz .LBB35_14
; %bb.1:
	v_and_b32_e32 v0, 0x3ff, v0
	s_and_b32 s3, s3, 0xffff
	s_load_b256 s[12:19], s[0:1], 0x50
	s_delay_alu instid0(VALU_DEP_1) | instskip(NEXT) | instid1(VALU_DEP_1)
	v_mad_co_u64_u32 v[0:1], null, ttmp9, s3, v[0:1]
	v_ashrrev_i32_e32 v1, 31, v0
	s_delay_alu instid0(VALU_DEP_1)
	v_cmp_gt_i64_e32 vcc_lo, s[8:9], v[0:1]
	s_and_b32 exec_lo, exec_lo, vcc_lo
	s_cbranch_execz .LBB35_14
; %bb.2:
	s_wait_kmcnt 0x0
	v_or_b32_e32 v3, s13, v5
	v_mov_b32_e32 v2, 0
	s_delay_alu instid0(VALU_DEP_1)
	v_cmp_ne_u64_e32 vcc_lo, 0, v[2:3]
                                        ; implicit-def: $vgpr2_vgpr3
	s_and_saveexec_b32 s2, vcc_lo
	s_wait_alu 0xfffe
	s_xor_b32 s20, exec_lo, s2
	s_cbranch_execz .LBB35_4
; %bb.3:
	s_ashr_i32 s10, s13, 31
	s_mov_b32 s29, 0
	s_wait_alu 0xfffe
	s_mov_b32 s11, s10
	v_ashrrev_i32_e32 v10, 31, v5
	s_wait_alu 0xfffe
	s_add_nc_u64 s[18:19], s[12:13], s[10:11]
	s_delay_alu instid0(SALU_CYCLE_1) | instskip(NEXT) | instid1(VALU_DEP_1)
	s_xor_b64 s[18:19], s[18:19], s[10:11]
	v_add_co_u32 v2, vcc_lo, v4, v10
	s_cvt_f32_u32 s2, s18
	s_cvt_f32_u32 s11, s19
	s_sub_nc_u64 s[24:25], 0, s[18:19]
	v_add_co_ci_u32_e64 v3, null, v5, v10, vcc_lo
	s_wait_alu 0xfffe
	s_fmamk_f32 s2, s11, 0x4f800000, s2
	v_xor_b32_e32 v11, v2, v10
	s_delay_alu instid0(VALU_DEP_2) | instskip(SKIP_2) | instid1(TRANS32_DEP_1)
	v_xor_b32_e32 v12, v3, v10
	s_wait_alu 0xfffe
	v_s_rcp_f32 s2, s2
	s_mul_f32 s2, s2, 0x5f7ffffc
	s_wait_alu 0xfffe
	s_delay_alu instid0(SALU_CYCLE_2) | instskip(SKIP_1) | instid1(SALU_CYCLE_2)
	s_mul_f32 s11, s2, 0x2f800000
	s_wait_alu 0xfffe
	s_trunc_f32 s11, s11
	s_wait_alu 0xfffe
	s_delay_alu instid0(SALU_CYCLE_2) | instskip(SKIP_2) | instid1(SALU_CYCLE_1)
	s_fmamk_f32 s2, s11, 0xcf800000, s2
	s_cvt_u32_f32 s23, s11
	s_wait_alu 0xfffe
	s_cvt_u32_f32 s22, s2
	s_delay_alu instid0(SALU_CYCLE_3) | instskip(NEXT) | instid1(SALU_CYCLE_1)
	s_mul_u64 s[26:27], s[24:25], s[22:23]
	s_mul_hi_u32 s31, s22, s27
	s_mul_i32 s30, s22, s27
	s_mul_hi_u32 s28, s22, s26
	s_mul_i32 s11, s23, s26
	s_add_nc_u64 s[30:31], s[28:29], s[30:31]
	s_mul_hi_u32 s2, s23, s26
	s_mul_hi_u32 s21, s23, s27
	s_wait_alu 0xfffe
	s_add_co_u32 s11, s30, s11
	s_add_co_ci_u32 s28, s31, s2
	s_mul_i32 s26, s23, s27
	s_add_co_ci_u32 s27, s21, 0
	s_delay_alu instid0(SALU_CYCLE_1) | instskip(NEXT) | instid1(SALU_CYCLE_1)
	s_add_nc_u64 s[26:27], s[28:29], s[26:27]
	s_add_co_u32 s22, s22, s26
	s_cselect_b32 s2, -1, 0
	s_wait_alu 0xfffe
	s_cmp_lg_u32 s2, 0
	s_add_co_ci_u32 s23, s23, s27
	s_delay_alu instid0(SALU_CYCLE_1) | instskip(NEXT) | instid1(SALU_CYCLE_1)
	s_mul_u64 s[24:25], s[24:25], s[22:23]
	s_mul_hi_u32 s27, s22, s25
	s_mul_i32 s26, s22, s25
	s_mul_hi_u32 s28, s22, s24
	s_mul_i32 s11, s23, s24
	s_add_nc_u64 s[26:27], s[28:29], s[26:27]
	s_mul_hi_u32 s2, s23, s24
	s_mul_hi_u32 s21, s23, s25
	s_wait_alu 0xfffe
	s_add_co_u32 s11, s26, s11
	s_add_co_ci_u32 s28, s27, s2
	s_mul_i32 s24, s23, s25
	s_add_co_ci_u32 s25, s21, 0
	s_delay_alu instid0(SALU_CYCLE_1) | instskip(NEXT) | instid1(SALU_CYCLE_1)
	s_add_nc_u64 s[24:25], s[28:29], s[24:25]
	s_add_co_u32 s2, s22, s24
	s_cselect_b32 s11, -1, 0
	s_wait_alu 0xfffe
	v_mul_hi_u32 v13, v11, s2
	s_cmp_lg_u32 s11, 0
	v_mad_co_u64_u32 v[6:7], null, v12, s2, 0
	s_add_co_ci_u32 s11, s23, s25
	s_wait_alu 0xfffe
	v_mad_co_u64_u32 v[2:3], null, v11, s11, 0
	v_mad_co_u64_u32 v[8:9], null, v12, s11, 0
	s_delay_alu instid0(VALU_DEP_2) | instskip(SKIP_1) | instid1(VALU_DEP_3)
	v_add_co_u32 v2, vcc_lo, v13, v2
	s_wait_alu 0xfffd
	v_add_co_ci_u32_e64 v3, null, 0, v3, vcc_lo
	s_delay_alu instid0(VALU_DEP_2) | instskip(SKIP_1) | instid1(VALU_DEP_2)
	v_add_co_u32 v2, vcc_lo, v2, v6
	s_wait_alu 0xfffd
	v_add_co_ci_u32_e32 v2, vcc_lo, v3, v7, vcc_lo
	s_wait_alu 0xfffd
	v_add_co_ci_u32_e32 v3, vcc_lo, 0, v9, vcc_lo
	s_delay_alu instid0(VALU_DEP_2) | instskip(SKIP_1) | instid1(VALU_DEP_2)
	v_add_co_u32 v6, vcc_lo, v2, v8
	s_wait_alu 0xfffd
	v_add_co_ci_u32_e64 v7, null, 0, v3, vcc_lo
	s_delay_alu instid0(VALU_DEP_2) | instskip(SKIP_1) | instid1(VALU_DEP_3)
	v_mul_lo_u32 v8, s19, v6
	v_mad_co_u64_u32 v[2:3], null, s18, v6, 0
	v_mul_lo_u32 v9, s18, v7
	s_delay_alu instid0(VALU_DEP_2) | instskip(NEXT) | instid1(VALU_DEP_2)
	v_sub_co_u32 v2, vcc_lo, v11, v2
	v_add3_u32 v3, v3, v9, v8
	v_add_co_u32 v9, s2, v6, 2
	s_wait_alu 0xf1ff
	v_add_co_ci_u32_e64 v11, null, 0, v7, s2
	s_delay_alu instid0(VALU_DEP_3) | instskip(SKIP_3) | instid1(VALU_DEP_3)
	v_sub_nc_u32_e32 v8, v12, v3
	v_sub_co_u32 v13, s2, v2, s18
	s_wait_alu 0xfffd
	v_sub_co_ci_u32_e64 v3, null, v12, v3, vcc_lo
	v_subrev_co_ci_u32_e64 v8, null, s19, v8, vcc_lo
	s_delay_alu instid0(VALU_DEP_3) | instskip(SKIP_1) | instid1(VALU_DEP_2)
	v_cmp_le_u32_e32 vcc_lo, s18, v13
	s_wait_alu 0xf1ff
	v_subrev_co_ci_u32_e64 v8, null, 0, v8, s2
	s_wait_alu 0xfffd
	v_cndmask_b32_e64 v12, 0, -1, vcc_lo
	s_delay_alu instid0(VALU_DEP_2)
	v_cmp_le_u32_e32 vcc_lo, s19, v8
	s_wait_alu 0xfffd
	v_cndmask_b32_e64 v13, 0, -1, vcc_lo
	v_cmp_le_u32_e32 vcc_lo, s18, v2
	s_wait_alu 0xfffd
	v_cndmask_b32_e64 v2, 0, -1, vcc_lo
	;; [unrolled: 3-line block ×3, first 2 shown]
	v_cmp_eq_u32_e32 vcc_lo, s19, v8
	s_wait_alu 0xfffd
	v_cndmask_b32_e32 v8, v13, v12, vcc_lo
	v_add_co_u32 v12, vcc_lo, v6, 1
	s_wait_alu 0xfffd
	v_add_co_ci_u32_e64 v13, null, 0, v7, vcc_lo
	v_cmp_eq_u32_e32 vcc_lo, s19, v3
	s_wait_alu 0xfffd
	v_cndmask_b32_e32 v2, v14, v2, vcc_lo
	v_cmp_ne_u32_e32 vcc_lo, 0, v8
	v_xor_b32_e32 v8, s10, v10
	s_wait_alu 0xfffd
	v_cndmask_b32_e32 v3, v13, v11, vcc_lo
	v_cmp_ne_u32_e64 s2, 0, v2
	v_cndmask_b32_e32 v2, v12, v9, vcc_lo
	s_wait_alu 0xf1ff
	s_delay_alu instid0(VALU_DEP_2) | instskip(NEXT) | instid1(VALU_DEP_2)
	v_cndmask_b32_e64 v3, v7, v3, s2
	v_cndmask_b32_e64 v2, v6, v2, s2
	s_delay_alu instid0(VALU_DEP_2) | instskip(NEXT) | instid1(VALU_DEP_2)
	v_xor_b32_e32 v3, v3, v8
	v_xor_b32_e32 v2, v2, v8
	s_delay_alu instid0(VALU_DEP_1) | instskip(SKIP_1) | instid1(VALU_DEP_3)
	v_sub_co_u32 v2, vcc_lo, v2, v8
	s_wait_alu 0xfffd
	v_sub_co_ci_u32_e64 v3, null, v3, v8, vcc_lo
.LBB35_4:
	s_and_not1_saveexec_b32 s2, s20
	s_cbranch_execz .LBB35_6
; %bb.5:
	v_cvt_f32_u32_e32 v2, s12
	s_sub_co_i32 s10, 0, s12
	s_delay_alu instid0(VALU_DEP_1) | instskip(NEXT) | instid1(TRANS32_DEP_1)
	v_rcp_iflag_f32_e32 v2, v2
	v_mul_f32_e32 v2, 0x4f7ffffe, v2
	s_delay_alu instid0(VALU_DEP_1) | instskip(SKIP_1) | instid1(VALU_DEP_1)
	v_cvt_u32_f32_e32 v2, v2
	s_wait_alu 0xfffe
	v_mul_lo_u32 v3, s10, v2
	s_delay_alu instid0(VALU_DEP_1) | instskip(NEXT) | instid1(VALU_DEP_1)
	v_mul_hi_u32 v3, v2, v3
	v_add_nc_u32_e32 v2, v2, v3
	s_delay_alu instid0(VALU_DEP_1) | instskip(NEXT) | instid1(VALU_DEP_1)
	v_mul_hi_u32 v2, v4, v2
	v_mul_lo_u32 v3, v2, s12
	v_add_nc_u32_e32 v6, 1, v2
	s_delay_alu instid0(VALU_DEP_2) | instskip(NEXT) | instid1(VALU_DEP_1)
	v_sub_nc_u32_e32 v3, v4, v3
	v_subrev_nc_u32_e32 v7, s12, v3
	v_cmp_le_u32_e32 vcc_lo, s12, v3
	s_wait_alu 0xfffd
	s_delay_alu instid0(VALU_DEP_2) | instskip(NEXT) | instid1(VALU_DEP_1)
	v_dual_cndmask_b32 v3, v3, v7 :: v_dual_cndmask_b32 v2, v2, v6
	v_cmp_le_u32_e32 vcc_lo, s12, v3
	s_delay_alu instid0(VALU_DEP_2) | instskip(SKIP_1) | instid1(VALU_DEP_1)
	v_dual_mov_b32 v3, 0 :: v_dual_add_nc_u32 v6, 1, v2
	s_wait_alu 0xfffd
	v_cndmask_b32_e32 v2, v2, v6, vcc_lo
.LBB35_6:
	s_wait_alu 0xfffe
	s_or_b32 exec_lo, exec_lo, s2
	v_mul_lo_u32 v3, v3, s12
	s_delay_alu instid0(VALU_DEP_2)
	v_mul_lo_u32 v8, v2, s13
	v_mad_co_u64_u32 v[6:7], null, v2, s12, 0
	s_add_nc_u64 s[10:11], s[0:1], 0x68
	v_add3_u32 v3, v7, v8, v3
	v_sub_co_u32 v10, vcc_lo, v4, v6
	v_mov_b32_e32 v7, 0
	s_wait_alu 0xfffd
	s_delay_alu instid0(VALU_DEP_3) | instskip(NEXT) | instid1(VALU_DEP_1)
	v_sub_co_ci_u32_e64 v3, null, v5, v3, vcc_lo
	v_or_b32_e32 v8, s7, v3
	s_delay_alu instid0(VALU_DEP_1)
	v_cmp_ne_u64_e32 vcc_lo, 0, v[7:8]
                                        ; implicit-def: $vgpr7_vgpr8
	s_and_saveexec_b32 s2, vcc_lo
	s_wait_alu 0xfffe
	s_xor_b32 s20, exec_lo, s2
	s_cbranch_execz .LBB35_8
; %bb.7:
	s_ashr_i32 s12, s7, 31
	s_mov_b32 s29, 0
	s_wait_alu 0xfffe
	s_mov_b32 s13, s12
	v_ashrrev_i32_e32 v9, 31, v3
	s_wait_alu 0xfffe
	s_add_nc_u64 s[18:19], s[6:7], s[12:13]
	s_wait_alu 0xfffe
	s_xor_b64 s[18:19], s[18:19], s[12:13]
	v_add_co_u32 v7, vcc_lo, v10, v9
	s_wait_alu 0xfffe
	s_cvt_f32_u32 s2, s18
	s_cvt_f32_u32 s13, s19
	s_sub_nc_u64 s[24:25], 0, s[18:19]
	s_wait_alu 0xfffd
	v_add_co_ci_u32_e64 v8, null, v3, v9, vcc_lo
	s_wait_alu 0xfffe
	s_fmamk_f32 s2, s13, 0x4f800000, s2
	v_xor_b32_e32 v15, v7, v9
	s_delay_alu instid0(VALU_DEP_2) | instskip(SKIP_3) | instid1(TRANS32_DEP_1)
	v_xor_b32_e32 v16, v8, v9
	s_wait_alu 0xfffe
	v_s_rcp_f32 s2, s2
	v_xor_b32_e32 v9, s12, v9
	s_mul_f32 s2, s2, 0x5f7ffffc
	s_wait_alu 0xfffe
	s_delay_alu instid0(SALU_CYCLE_2) | instskip(SKIP_1) | instid1(SALU_CYCLE_2)
	s_mul_f32 s13, s2, 0x2f800000
	s_wait_alu 0xfffe
	s_trunc_f32 s13, s13
	s_wait_alu 0xfffe
	s_delay_alu instid0(SALU_CYCLE_2) | instskip(SKIP_2) | instid1(SALU_CYCLE_1)
	s_fmamk_f32 s2, s13, 0xcf800000, s2
	s_cvt_u32_f32 s23, s13
	s_wait_alu 0xfffe
	s_cvt_u32_f32 s22, s2
	s_delay_alu instid0(SALU_CYCLE_3) | instskip(NEXT) | instid1(SALU_CYCLE_1)
	s_mul_u64 s[26:27], s[24:25], s[22:23]
	s_mul_hi_u32 s31, s22, s27
	s_mul_i32 s30, s22, s27
	s_mul_hi_u32 s28, s22, s26
	s_mul_i32 s13, s23, s26
	s_add_nc_u64 s[30:31], s[28:29], s[30:31]
	s_mul_hi_u32 s2, s23, s26
	s_mul_hi_u32 s21, s23, s27
	s_wait_alu 0xfffe
	s_add_co_u32 s13, s30, s13
	s_add_co_ci_u32 s28, s31, s2
	s_mul_i32 s26, s23, s27
	s_add_co_ci_u32 s27, s21, 0
	s_delay_alu instid0(SALU_CYCLE_1) | instskip(NEXT) | instid1(SALU_CYCLE_1)
	s_add_nc_u64 s[26:27], s[28:29], s[26:27]
	s_add_co_u32 s22, s22, s26
	s_cselect_b32 s2, -1, 0
	s_wait_alu 0xfffe
	s_cmp_lg_u32 s2, 0
	s_add_co_ci_u32 s23, s23, s27
	s_delay_alu instid0(SALU_CYCLE_1) | instskip(NEXT) | instid1(SALU_CYCLE_1)
	s_mul_u64 s[24:25], s[24:25], s[22:23]
	s_mul_hi_u32 s27, s22, s25
	s_mul_i32 s26, s22, s25
	s_mul_hi_u32 s28, s22, s24
	s_mul_i32 s13, s23, s24
	s_add_nc_u64 s[26:27], s[28:29], s[26:27]
	s_mul_hi_u32 s2, s23, s24
	s_mul_hi_u32 s21, s23, s25
	s_wait_alu 0xfffe
	s_add_co_u32 s13, s26, s13
	s_add_co_ci_u32 s28, s27, s2
	s_mul_i32 s24, s23, s25
	s_add_co_ci_u32 s25, s21, 0
	s_delay_alu instid0(SALU_CYCLE_1) | instskip(NEXT) | instid1(SALU_CYCLE_1)
	s_add_nc_u64 s[24:25], s[28:29], s[24:25]
	s_add_co_u32 s2, s22, s24
	s_cselect_b32 s13, -1, 0
	s_wait_alu 0xfffe
	v_mul_hi_u32 v17, v15, s2
	s_cmp_lg_u32 s13, 0
	v_mad_co_u64_u32 v[11:12], null, v16, s2, 0
	s_add_co_ci_u32 s13, s23, s25
	s_wait_alu 0xfffe
	v_mad_co_u64_u32 v[7:8], null, v15, s13, 0
	v_mad_co_u64_u32 v[13:14], null, v16, s13, 0
	s_delay_alu instid0(VALU_DEP_2) | instskip(SKIP_1) | instid1(VALU_DEP_3)
	v_add_co_u32 v7, vcc_lo, v17, v7
	s_wait_alu 0xfffd
	v_add_co_ci_u32_e64 v8, null, 0, v8, vcc_lo
	s_delay_alu instid0(VALU_DEP_2) | instskip(SKIP_1) | instid1(VALU_DEP_2)
	v_add_co_u32 v7, vcc_lo, v7, v11
	s_wait_alu 0xfffd
	v_add_co_ci_u32_e32 v7, vcc_lo, v8, v12, vcc_lo
	s_wait_alu 0xfffd
	v_add_co_ci_u32_e32 v8, vcc_lo, 0, v14, vcc_lo
	s_delay_alu instid0(VALU_DEP_2) | instskip(SKIP_1) | instid1(VALU_DEP_2)
	v_add_co_u32 v11, vcc_lo, v7, v13
	s_wait_alu 0xfffd
	v_add_co_ci_u32_e64 v12, null, 0, v8, vcc_lo
	s_delay_alu instid0(VALU_DEP_2) | instskip(SKIP_1) | instid1(VALU_DEP_3)
	v_mul_lo_u32 v13, s19, v11
	v_mad_co_u64_u32 v[7:8], null, s18, v11, 0
	v_mul_lo_u32 v14, s18, v12
	s_delay_alu instid0(VALU_DEP_2) | instskip(NEXT) | instid1(VALU_DEP_2)
	v_sub_co_u32 v7, vcc_lo, v15, v7
	v_add3_u32 v8, v8, v14, v13
	v_add_co_u32 v14, s2, v11, 2
	s_wait_alu 0xf1ff
	v_add_co_ci_u32_e64 v15, null, 0, v12, s2
	s_delay_alu instid0(VALU_DEP_3) | instskip(SKIP_3) | instid1(VALU_DEP_3)
	v_sub_nc_u32_e32 v13, v16, v8
	v_sub_co_u32 v17, s2, v7, s18
	s_wait_alu 0xfffd
	v_sub_co_ci_u32_e64 v8, null, v16, v8, vcc_lo
	v_subrev_co_ci_u32_e64 v13, null, s19, v13, vcc_lo
	s_delay_alu instid0(VALU_DEP_3) | instskip(SKIP_1) | instid1(VALU_DEP_2)
	v_cmp_le_u32_e32 vcc_lo, s18, v17
	s_wait_alu 0xf1ff
	v_subrev_co_ci_u32_e64 v13, null, 0, v13, s2
	s_wait_alu 0xfffd
	v_cndmask_b32_e64 v16, 0, -1, vcc_lo
	s_delay_alu instid0(VALU_DEP_2)
	v_cmp_le_u32_e32 vcc_lo, s19, v13
	s_wait_alu 0xfffd
	v_cndmask_b32_e64 v17, 0, -1, vcc_lo
	v_cmp_le_u32_e32 vcc_lo, s18, v7
	s_wait_alu 0xfffd
	v_cndmask_b32_e64 v7, 0, -1, vcc_lo
	;; [unrolled: 3-line block ×3, first 2 shown]
	v_cmp_eq_u32_e32 vcc_lo, s19, v13
	s_wait_alu 0xfffd
	v_cndmask_b32_e32 v13, v17, v16, vcc_lo
	v_add_co_u32 v16, vcc_lo, v11, 1
	s_wait_alu 0xfffd
	v_add_co_ci_u32_e64 v17, null, 0, v12, vcc_lo
	v_cmp_eq_u32_e32 vcc_lo, s19, v8
	s_wait_alu 0xfffd
	v_cndmask_b32_e32 v7, v18, v7, vcc_lo
	v_cmp_ne_u32_e32 vcc_lo, 0, v13
	s_delay_alu instid0(VALU_DEP_2) | instskip(SKIP_3) | instid1(VALU_DEP_1)
	v_cmp_ne_u32_e64 s2, 0, v7
	s_wait_alu 0xfffd
	v_dual_cndmask_b32 v8, v17, v15 :: v_dual_cndmask_b32 v7, v16, v14
	s_wait_alu 0xf1ff
	v_cndmask_b32_e64 v8, v12, v8, s2
	s_delay_alu instid0(VALU_DEP_2) | instskip(NEXT) | instid1(VALU_DEP_2)
	v_cndmask_b32_e64 v7, v11, v7, s2
	v_xor_b32_e32 v8, v8, v9
	s_delay_alu instid0(VALU_DEP_2) | instskip(NEXT) | instid1(VALU_DEP_1)
	v_xor_b32_e32 v7, v7, v9
	v_sub_co_u32 v7, vcc_lo, v7, v9
	s_wait_alu 0xfffd
	s_delay_alu instid0(VALU_DEP_3)
	v_sub_co_ci_u32_e64 v8, null, v8, v9, vcc_lo
.LBB35_8:
	s_or_saveexec_b32 s12, s20
	s_load_b32 s2, s[10:11], 0x0
	s_xor_b32 exec_lo, exec_lo, s12
	s_cbranch_execz .LBB35_10
; %bb.9:
	v_cvt_f32_u32_e32 v7, s6
	s_sub_co_i32 s10, 0, s6
	s_delay_alu instid0(VALU_DEP_1) | instskip(NEXT) | instid1(TRANS32_DEP_1)
	v_rcp_iflag_f32_e32 v7, v7
	v_mul_f32_e32 v7, 0x4f7ffffe, v7
	s_delay_alu instid0(VALU_DEP_1) | instskip(SKIP_1) | instid1(VALU_DEP_1)
	v_cvt_u32_f32_e32 v7, v7
	s_wait_alu 0xfffe
	v_mul_lo_u32 v8, s10, v7
	s_delay_alu instid0(VALU_DEP_1) | instskip(NEXT) | instid1(VALU_DEP_1)
	v_mul_hi_u32 v8, v7, v8
	v_add_nc_u32_e32 v7, v7, v8
	s_delay_alu instid0(VALU_DEP_1) | instskip(NEXT) | instid1(VALU_DEP_1)
	v_mul_hi_u32 v7, v10, v7
	v_mul_lo_u32 v8, v7, s6
	v_add_nc_u32_e32 v9, 1, v7
	s_delay_alu instid0(VALU_DEP_2) | instskip(NEXT) | instid1(VALU_DEP_1)
	v_sub_nc_u32_e32 v8, v10, v8
	v_subrev_nc_u32_e32 v11, s6, v8
	v_cmp_le_u32_e32 vcc_lo, s6, v8
	s_wait_alu 0xfffd
	s_delay_alu instid0(VALU_DEP_2) | instskip(NEXT) | instid1(VALU_DEP_1)
	v_dual_cndmask_b32 v8, v8, v11 :: v_dual_cndmask_b32 v7, v7, v9
	v_cmp_le_u32_e32 vcc_lo, s6, v8
	s_delay_alu instid0(VALU_DEP_2) | instskip(SKIP_1) | instid1(VALU_DEP_1)
	v_dual_mov_b32 v8, 0 :: v_dual_add_nc_u32 v9, 1, v7
	s_wait_alu 0xfffd
	v_cndmask_b32_e32 v7, v7, v9, vcc_lo
.LBB35_10:
	s_or_b32 exec_lo, exec_lo, s12
	s_load_b96 s[28:30], s[0:1], 0x20
	v_lshlrev_b64_e32 v[4:5], 2, v[4:5]
	s_load_b256 s[20:27], s[0:1], 0x0
	v_mul_lo_u32 v24, v8, s8
	v_mul_lo_u32 v25, v7, s9
	;; [unrolled: 1-line block ×5, first 2 shown]
	s_lshl_b64 s[12:13], s[8:9], 2
	v_lshlrev_b64_e32 v[0:1], 2, v[0:1]
	s_wait_kmcnt 0x0
	v_add_co_u32 v11, vcc_lo, s28, v4
	s_wait_alu 0xfffd
	v_add_co_ci_u32_e64 v12, null, s29, v5, vcc_lo
	s_add_f32 s10, s30, -1.0
	v_add_co_u32 v4, s0, s22, v4
	global_load_b32 v19, v[11:12], off
	s_wait_alu 0xf1ff
	v_add_co_ci_u32_e64 v5, null, s23, v5, s0
	s_wait_loadcnt 0x0
	v_cmp_neq_f32_e32 vcc_lo, 1.0, v19
	s_wait_alu 0xfffc
	v_cndmask_b32_e64 v20, 1.0, s10, vcc_lo
	s_mov_b32 s10, 0x3e76c4e1
	s_delay_alu instid0(VALU_DEP_1) | instskip(SKIP_2) | instid1(VALU_DEP_1)
	v_cmp_neq_f32_e32 vcc_lo, 0, v20
	s_wait_alu 0xfffd
	v_cndmask_b32_e32 v21, 1.0, v19, vcc_lo
	v_frexp_mant_f32_e64 v9, |v21|
	s_delay_alu instid0(VALU_DEP_1) | instskip(SKIP_2) | instid1(VALU_DEP_1)
	v_cmp_gt_f32_e32 vcc_lo, 0x3f2aaaab, v9
	s_wait_alu 0xfffd
	v_cndmask_b32_e64 v11, 1.0, 2.0, vcc_lo
	v_mul_f32_e32 v9, v9, v11
	s_delay_alu instid0(VALU_DEP_1) | instskip(SKIP_1) | instid1(VALU_DEP_2)
	v_add_f32_e32 v11, 1.0, v9
	v_add_f32_e32 v13, -1.0, v9
	v_rcp_f32_e32 v12, v11
	s_delay_alu instid0(TRANS32_DEP_1) | instskip(NEXT) | instid1(VALU_DEP_1)
	v_dual_add_f32 v15, -1.0, v11 :: v_dual_mul_f32 v14, v13, v12
	v_dual_mul_f32 v16, v11, v14 :: v_dual_sub_f32 v9, v9, v15
	s_delay_alu instid0(VALU_DEP_1) | instskip(NEXT) | instid1(VALU_DEP_1)
	v_fma_f32 v11, v14, v11, -v16
	v_fmac_f32_e32 v11, v14, v9
	s_delay_alu instid0(VALU_DEP_1) | instskip(NEXT) | instid1(VALU_DEP_1)
	v_add_f32_e32 v9, v16, v11
	v_sub_f32_e32 v15, v13, v9
	v_sub_f32_e32 v16, v9, v16
	s_delay_alu instid0(VALU_DEP_2) | instskip(NEXT) | instid1(VALU_DEP_2)
	v_sub_f32_e32 v13, v13, v15
	v_sub_f32_e32 v11, v16, v11
	s_delay_alu instid0(VALU_DEP_2) | instskip(NEXT) | instid1(VALU_DEP_1)
	v_sub_f32_e32 v9, v13, v9
	v_add_f32_e32 v9, v11, v9
	s_delay_alu instid0(VALU_DEP_1) | instskip(NEXT) | instid1(VALU_DEP_1)
	v_add_f32_e32 v9, v15, v9
	v_mul_f32_e32 v11, v12, v9
	global_load_b32 v9, v[4:5], off
	v_add_f32_e32 v12, v14, v11
	s_delay_alu instid0(VALU_DEP_1) | instskip(NEXT) | instid1(VALU_DEP_1)
	v_sub_f32_e32 v13, v12, v14
	v_dual_mul_f32 v14, v12, v12 :: v_dual_sub_f32 v11, v11, v13
	s_delay_alu instid0(VALU_DEP_1) | instskip(NEXT) | instid1(VALU_DEP_2)
	v_fma_f32 v13, v12, v12, -v14
	v_add_f32_e32 v4, v11, v11
	s_delay_alu instid0(VALU_DEP_1) | instskip(SKIP_1) | instid1(VALU_DEP_2)
	v_fmac_f32_e32 v13, v12, v4
	v_cvt_f64_f32_e64 v[4:5], |v21|
	v_add_f32_e32 v15, v14, v13
	s_wait_alu 0xfffe
	s_delay_alu instid0(VALU_DEP_1) | instskip(SKIP_2) | instid1(VALU_DEP_2)
	v_fmaak_f32 v16, s10, v15, 0x3e91f4c4
	v_sub_f32_e32 v14, v15, v14
	v_mul_f32_e32 v22, v12, v15
	v_dual_fmaak_f32 v16, v15, v16, 0x3ecccdef :: v_dual_sub_f32 v13, v13, v14
	s_delay_alu instid0(VALU_DEP_1) | instskip(NEXT) | instid1(VALU_DEP_1)
	v_mul_f32_e32 v17, v15, v16
	v_fma_f32 v14, v15, v16, -v17
	s_delay_alu instid0(VALU_DEP_1) | instskip(NEXT) | instid1(VALU_DEP_1)
	v_fmac_f32_e32 v14, v13, v16
	v_add_f32_e32 v16, v17, v14
	v_frexp_exp_i32_f64_e32 v4, v[4:5]
	s_delay_alu instid0(VALU_DEP_2) | instskip(NEXT) | instid1(VALU_DEP_2)
	v_add_f32_e32 v18, 0x3f2aaaaa, v16
	v_subrev_co_ci_u32_e64 v4, null, 0, v4, vcc_lo
	s_delay_alu instid0(VALU_DEP_1) | instskip(SKIP_1) | instid1(VALU_DEP_1)
	v_cvt_f32_i32_e32 v4, v4
	v_sub_f32_e32 v17, v16, v17
	v_dual_sub_f32 v5, v14, v17 :: v_dual_add_f32 v14, 0xbf2aaaaa, v18
	v_fma_f32 v17, v15, v12, -v22
	s_delay_alu instid0(VALU_DEP_2) | instskip(NEXT) | instid1(VALU_DEP_2)
	v_dual_add_f32 v5, 0x31739010, v5 :: v_dual_sub_f32 v14, v16, v14
	v_fmac_f32_e32 v17, v15, v11
	v_ldexp_f32 v11, v11, 1
	s_delay_alu instid0(VALU_DEP_3) | instskip(NEXT) | instid1(VALU_DEP_3)
	v_add_f32_e32 v5, v5, v14
	v_fmac_f32_e32 v17, v13, v12
	s_delay_alu instid0(VALU_DEP_2) | instskip(NEXT) | instid1(VALU_DEP_2)
	v_add_f32_e32 v13, v18, v5
	v_add_f32_e32 v14, v22, v17
	s_delay_alu instid0(VALU_DEP_2) | instskip(NEXT) | instid1(VALU_DEP_2)
	v_sub_f32_e32 v15, v18, v13
	v_mul_f32_e32 v16, v14, v13
	v_sub_f32_e32 v18, v14, v22
	v_ashrrev_i32_e32 v22, 31, v2
	s_delay_alu instid0(VALU_DEP_4) | instskip(NEXT) | instid1(VALU_DEP_4)
	v_add_f32_e32 v5, v5, v15
	v_fma_f32 v15, v14, v13, -v16
	s_delay_alu instid0(VALU_DEP_4) | instskip(NEXT) | instid1(VALU_DEP_2)
	v_sub_f32_e32 v17, v17, v18
	v_fmac_f32_e32 v15, v14, v5
	v_ldexp_f32 v5, v12, 1
	s_delay_alu instid0(VALU_DEP_2) | instskip(NEXT) | instid1(VALU_DEP_1)
	v_fmac_f32_e32 v15, v17, v13
	v_add_f32_e32 v12, v16, v15
	s_delay_alu instid0(VALU_DEP_1) | instskip(SKIP_1) | instid1(VALU_DEP_2)
	v_add_f32_e32 v13, v5, v12
	v_sub_f32_e32 v14, v12, v16
	v_dual_mul_f32 v16, 0x3f317218, v4 :: v_dual_sub_f32 v5, v13, v5
	s_delay_alu instid0(VALU_DEP_2) | instskip(NEXT) | instid1(VALU_DEP_2)
	v_sub_f32_e32 v14, v15, v14
	v_fma_f32 v15, 0x3f317218, v4, -v16
	s_delay_alu instid0(VALU_DEP_3) | instskip(NEXT) | instid1(VALU_DEP_3)
	v_sub_f32_e32 v5, v12, v5
	v_add_f32_e32 v11, v11, v14
	s_delay_alu instid0(VALU_DEP_1) | instskip(NEXT) | instid1(VALU_DEP_1)
	v_dual_fmac_f32 v15, 0xb102e308, v4 :: v_dual_add_f32 v4, v11, v5
	v_add_f32_e32 v5, v16, v15
	s_delay_alu instid0(VALU_DEP_2) | instskip(NEXT) | instid1(VALU_DEP_2)
	v_add_f32_e32 v11, v13, v4
	v_sub_f32_e32 v16, v5, v16
	s_delay_alu instid0(VALU_DEP_2) | instskip(NEXT) | instid1(VALU_DEP_1)
	v_dual_add_f32 v12, v5, v11 :: v_dual_sub_f32 v13, v11, v13
	v_dual_sub_f32 v15, v15, v16 :: v_dual_sub_f32 v14, v12, v5
	s_delay_alu instid0(VALU_DEP_2) | instskip(NEXT) | instid1(VALU_DEP_2)
	v_sub_f32_e32 v4, v4, v13
	v_sub_f32_e32 v17, v12, v14
	;; [unrolled: 1-line block ×3, first 2 shown]
	s_delay_alu instid0(VALU_DEP_3) | instskip(SKIP_3) | instid1(VALU_DEP_1)
	v_add_f32_e32 v13, v15, v4
	v_mul_lo_u32 v14, s8, v6
	v_mul_lo_u32 v6, v8, s6
	v_sub_f32_e32 v5, v5, v17
	v_add_f32_e32 v5, v11, v5
	v_sub_f32_e32 v11, v13, v15
	s_delay_alu instid0(VALU_DEP_2) | instskip(NEXT) | instid1(VALU_DEP_2)
	v_add_f32_e32 v5, v13, v5
	v_sub_f32_e32 v13, v13, v11
	v_sub_f32_e32 v4, v4, v11
	s_delay_alu instid0(VALU_DEP_3) | instskip(NEXT) | instid1(VALU_DEP_3)
	v_add_f32_e32 v16, v12, v5
	v_sub_f32_e32 v11, v15, v13
	s_delay_alu instid0(VALU_DEP_2) | instskip(NEXT) | instid1(VALU_DEP_2)
	v_dual_mov_b32 v13, 0 :: v_dual_sub_f32 v12, v16, v12
	v_add_f32_e32 v11, v4, v11
	s_delay_alu instid0(VALU_DEP_2) | instskip(NEXT) | instid1(VALU_DEP_3)
	v_ashrrev_i64 v[13:14], 30, v[13:14]
	v_sub_f32_e32 v12, v5, v12
	v_mad_co_u64_u32 v[4:5], null, v2, s14, 0
	s_delay_alu instid0(VALU_DEP_2) | instskip(SKIP_1) | instid1(VALU_DEP_2)
	v_add_f32_e32 v17, v11, v12
	v_mad_co_u64_u32 v[11:12], null, v7, s8, 0
	v_add_f32_e32 v18, v16, v17
	s_delay_alu instid0(VALU_DEP_2) | instskip(NEXT) | instid1(VALU_DEP_2)
	v_add3_u32 v12, v12, v25, v24
	v_dual_sub_f32 v26, v18, v16 :: v_dual_mul_f32 v27, v20, v18
	v_mad_co_u64_u32 v[15:16], null, v7, s6, 0
	s_mov_b32 s6, 0
	v_sub_f32_e32 v26, v17, v26
	v_fma_f32 v29, v20, v18, -v27
	v_mad_co_u64_u32 v[17:18], null, v2, s16, 0
	v_mul_lo_u32 v2, v22, s14
	v_cmp_class_f32_e64 s0, v27, 0x204
	s_delay_alu instid0(VALU_DEP_4) | instskip(SKIP_3) | instid1(VALU_DEP_4)
	v_fmac_f32_e32 v29, v20, v26
	v_add3_u32 v6, v16, v28, v6
	v_sub_co_u32 v15, vcc_lo, v10, v15
	v_lshlrev_b64_e32 v[10:11], 2, v[11:12]
	v_add_f32_e32 v24, v27, v29
	v_add3_u32 v5, v5, v23, v2
	s_wait_alu 0xfffd
	v_sub_co_ci_u32_e64 v12, null, v3, v6, vcc_lo
	v_mul_lo_u32 v22, v22, s16
	s_wait_alu 0xf1ff
	v_cndmask_b32_e64 v23, v24, v27, s0
	v_mad_co_u64_u32 v[2:3], null, v15, s4, v[7:8]
	v_lshlrev_b64_e32 v[4:5], 2, v[4:5]
	v_mul_lo_u32 v28, v12, s4
	s_delay_alu instid0(VALU_DEP_4)
	v_cmp_eq_f32_e32 vcc_lo, 0x42b17218, v23
	v_mul_lo_u32 v25, v15, s5
	v_add3_u32 v18, v18, v30, v22
	v_mul_lo_u32 v22, v15, s9
	v_mul_lo_u32 v33, v2, s9
	s_wait_alu 0xfffd
	v_cndmask_b32_e64 v8, 0, 0x37000000, vcc_lo
	v_add_co_u32 v30, vcc_lo, s20, v13
	v_lshlrev_b64_e32 v[6:7], 2, v[17:18]
	s_wait_alu 0xfffd
	v_add_co_ci_u32_e64 v31, null, s21, v14, vcc_lo
	v_sub_f32_e32 v26, v23, v8
	v_mul_lo_u32 v17, v12, s8
	v_mad_co_u64_u32 v[12:13], null, v2, s8, 0
	v_mad_co_u64_u32 v[15:16], null, v15, s8, 0
	s_delay_alu instid0(VALU_DEP_4) | instskip(SKIP_3) | instid1(VALU_DEP_3)
	v_mul_f32_e32 v18, 0x3fb8aa3b, v26
	v_add_co_u32 v4, vcc_lo, s24, v4
	s_wait_alu 0xfffd
	v_add_co_ci_u32_e64 v5, null, s25, v5, vcc_lo
	v_fma_f32 v14, 0x3fb8aa3b, v26, -v18
	v_rndne_f32_e32 v32, v18
	v_add3_u32 v3, v28, v3, v25
	v_add3_u32 v16, v16, v22, v17
	s_delay_alu instid0(VALU_DEP_4) | instskip(NEXT) | instid1(VALU_DEP_4)
	v_dual_sub_f32 v17, v24, v27 :: v_dual_fmac_f32 v14, 0x32a5705f, v26
	v_sub_f32_e32 v2, v18, v32
	v_add_co_u32 v18, vcc_lo, s26, v6
	s_wait_alu 0xfffd
	v_add_co_ci_u32_e64 v34, null, s27, v7, vcc_lo
	s_delay_alu instid0(VALU_DEP_3) | instskip(SKIP_3) | instid1(VALU_DEP_3)
	v_add_f32_e32 v2, v2, v14
	v_add_co_u32 v6, vcc_lo, v4, v10
	s_wait_alu 0xfffd
	v_add_co_ci_u32_e64 v7, null, v5, v11, vcc_lo
	v_exp_f32_e32 v22, v2
	s_delay_alu instid0(VALU_DEP_2)
	v_add_co_u32 v2, vcc_lo, v6, s12
	v_mul_lo_u32 v4, v3, s8
	v_sub_f32_e32 v5, v29, v17
	v_cvt_i32_f32_e32 v10, v32
	s_wait_alu 0xfffd
	v_add_co_ci_u32_e64 v3, null, s13, v7, vcc_lo
	v_cmp_neq_f32_e64 vcc_lo, 0x7f800000, |v23|
	v_mul_f32_e32 v11, 0.5, v20
	s_delay_alu instid0(TRANS32_DEP_1)
	v_ldexp_f32 v10, v22, v10
	v_lshlrev_b64_e32 v[14:15], 2, v[15:16]
	v_trunc_f32_e32 v16, v20
	s_wait_alu 0xfffd
	v_cndmask_b32_e32 v5, 0, v5, vcc_lo
	v_cmp_ngt_f32_e32 vcc_lo, 0xc2ce8ed0, v26
	v_trunc_f32_e32 v17, v11
	v_add3_u32 v13, v13, v33, v4
	v_cmp_neq_f32_e64 s4, v20, |v20|
	s_wait_alu 0xfffd
	v_dual_add_f32 v5, v8, v5 :: v_dual_cndmask_b32 v10, 0, v10
	v_cmp_nlt_f32_e32 vcc_lo, 0x42b17218, v26
	v_cmp_neq_f32_e64 s0, v17, v11
	v_cmp_lt_f32_e64 s5, |v21|, 1.0
	s_wait_alu 0xfffd
	v_cndmask_b32_e32 v8, 0x7f800000, v10, vcc_lo
	v_cmp_eq_f32_e32 vcc_lo, v16, v20
	v_lshlrev_b64_e32 v[10:11], 2, v[12:13]
	s_delay_alu instid0(VALU_DEP_3)
	v_fma_f32 v4, v8, v5, v8
	v_cmp_class_f32_e64 s1, v8, 0x204
	s_and_b32 s0, vcc_lo, s0
	s_wait_alu 0xfffe
	v_cndmask_b32_e64 v16, 1.0, v21, s0
	v_cndmask_b32_e64 v17, 0, v21, s0
	v_cndmask_b32_e64 v8, v4, v8, s1
	v_add_co_u32 v4, s1, v6, v0
	s_wait_alu 0xf1ff
	v_add_co_ci_u32_e64 v5, null, v7, v1, s1
	s_delay_alu instid0(VALU_DEP_3)
	v_bfi_b32 v8, 0x7fffffff, v8, v16
	s_xor_b32 s1, s4, s5
	s_mul_i32 s4, s2, s3
	s_wait_alu 0xfffe
	v_cndmask_b32_e64 v12, 0x7f800000, 0, s1
	v_cmp_gt_f32_e64 s1, 0, v20
	v_cndmask_b32_e32 v16, 0x7fc00000, v8, vcc_lo
	v_cmp_neq_f32_e64 vcc_lo, |v21|, 1.0
	v_cmp_neq_f32_e64 s0, 0, v19
	s_add_f32 s3, s30, -2.0
	s_wait_alu 0xf1ff
	v_cndmask_b32_e64 v13, 0x7f800000, 0, s1
	s_ashr_i32 s5, s4, 31
	s_wait_alu 0xfffd
	v_cndmask_b32_e32 v12, 1.0, v12, vcc_lo
	v_cmp_gt_f32_e32 vcc_lo, 0, v21
	s_wait_alu 0xfffe
	s_lshl_b64 s[4:5], s[4:5], 2
	v_bfi_b32 v13, 0x7fffffff, v13, v17
	s_wait_alu 0xfffd
	v_cndmask_b32_e32 v16, v8, v16, vcc_lo
	v_add_co_u32 v8, vcc_lo, v30, v10
	s_wait_alu 0xfffd
	v_add_co_ci_u32_e64 v10, null, v31, v11, vcc_lo
	v_cmp_class_f32_e64 vcc_lo, v20, 0x204
	s_wait_alu 0xfffd
	v_cndmask_b32_e32 v16, v16, v12, vcc_lo
	v_add_co_u32 v11, vcc_lo, v18, v14
	s_wait_alu 0xfffd
	v_add_co_ci_u32_e64 v12, null, v34, v15, vcc_lo
	v_cmp_class_f32_e64 vcc_lo, v21, 0x204
	s_wait_alu 0xfffd
	v_cndmask_b32_e32 v13, v16, v13, vcc_lo
	v_cmp_o_f32_e32 vcc_lo, v21, v20
	s_wait_alu 0xfffd
	s_delay_alu instid0(VALU_DEP_2)
	v_cndmask_b32_e32 v13, 0x7fc00000, v13, vcc_lo
	s_branch .LBB35_12
.LBB35_11:                              ;   in Loop: Header=BB35_12 Depth=1
	s_wait_alu 0xfffe
	s_or_b32 exec_lo, exec_lo, s7
	v_add_co_u32 v4, vcc_lo, v4, s4
	s_wait_alu 0xfffd
	v_add_co_ci_u32_e64 v5, null, s5, v5, vcc_lo
	v_add_co_u32 v15, vcc_lo, v8, v0
	s_wait_alu 0xfffd
	v_add_co_ci_u32_e64 v16, null, v10, v1, vcc_lo
	s_delay_alu instid0(VALU_DEP_3)
	v_cmp_ge_u64_e32 vcc_lo, v[4:5], v[2:3]
	v_add_co_u32 v0, s1, v0, s4
	s_wait_alu 0xf1ff
	v_add_co_ci_u32_e64 v1, null, s5, v1, s1
	global_store_b32 v[15:16], v14, off
	s_or_b32 s6, vcc_lo, s6
	s_wait_alu 0xfffe
	s_and_not1_b32 exec_lo, exec_lo, s6
	s_cbranch_execz .LBB35_14
.LBB35_12:                              ; =>This Inner Loop Header: Depth=1
	v_mov_b32_e32 v14, 0
	s_and_saveexec_b32 s7, s0
	s_cbranch_execz .LBB35_11
; %bb.13:                               ;   in Loop: Header=BB35_12 Depth=1
	v_add_co_u32 v14, vcc_lo, v6, v0
	s_wait_alu 0xfffd
	v_add_co_ci_u32_e64 v15, null, v7, v1, vcc_lo
	v_add_co_u32 v16, vcc_lo, v11, v0
	s_wait_alu 0xfffd
	v_add_co_ci_u32_e64 v17, null, v12, v1, vcc_lo
	global_load_b32 v14, v[14:15], off
	global_load_b32 v15, v[16:17], off
	s_wait_loadcnt 0x0
	v_sub_f32_e32 v16, v14, v15
	s_delay_alu instid0(VALU_DEP_1) | instskip(SKIP_1) | instid1(VALU_DEP_1)
	v_cmp_neq_f32_e64 s1, |v16|, 1.0
	s_wait_alu 0xf1ff
	v_cndmask_b32_e64 v17, 1.0, s3, s1
	s_delay_alu instid0(VALU_DEP_1) | instskip(SKIP_3) | instid1(VALU_DEP_1)
	v_cmp_neq_f32_e32 vcc_lo, 0, v17
	v_cmp_neq_f32_e64 s2, v17, |v17|
	s_wait_alu 0xfffd
	v_cndmask_b32_e64 v18, 1.0, |v16|, vcc_lo
	v_frexp_mant_f32_e32 v14, v18
	s_delay_alu instid0(VALU_DEP_1) | instskip(SKIP_2) | instid1(VALU_DEP_1)
	v_cmp_gt_f32_e32 vcc_lo, 0x3f2aaaab, v14
	s_wait_alu 0xfffd
	v_cndmask_b32_e64 v15, 1.0, 2.0, vcc_lo
	v_mul_f32_e32 v14, v14, v15
	s_delay_alu instid0(VALU_DEP_1) | instskip(SKIP_1) | instid1(VALU_DEP_2)
	v_add_f32_e32 v15, 1.0, v14
	v_add_f32_e32 v20, -1.0, v14
	v_rcp_f32_e32 v19, v15
	v_add_f32_e32 v22, -1.0, v15
	s_delay_alu instid0(TRANS32_DEP_1) | instskip(NEXT) | instid1(VALU_DEP_1)
	v_mul_f32_e32 v21, v20, v19
	v_dual_mul_f32 v23, v15, v21 :: v_dual_sub_f32 v14, v14, v22
	s_delay_alu instid0(VALU_DEP_1) | instskip(NEXT) | instid1(VALU_DEP_1)
	v_fma_f32 v15, v21, v15, -v23
	v_fmac_f32_e32 v15, v21, v14
	s_delay_alu instid0(VALU_DEP_1) | instskip(NEXT) | instid1(VALU_DEP_1)
	v_add_f32_e32 v14, v23, v15
	v_dual_sub_f32 v23, v14, v23 :: v_dual_sub_f32 v22, v20, v14
	s_delay_alu instid0(VALU_DEP_1) | instskip(NEXT) | instid1(VALU_DEP_1)
	v_dual_sub_f32 v15, v23, v15 :: v_dual_sub_f32 v20, v20, v22
	v_sub_f32_e32 v14, v20, v14
	s_delay_alu instid0(VALU_DEP_1) | instskip(NEXT) | instid1(VALU_DEP_1)
	v_add_f32_e32 v14, v15, v14
	v_add_f32_e32 v14, v22, v14
	s_delay_alu instid0(VALU_DEP_1) | instskip(NEXT) | instid1(VALU_DEP_1)
	v_mul_f32_e32 v14, v19, v14
	v_add_f32_e32 v19, v21, v14
	s_delay_alu instid0(VALU_DEP_1) | instskip(SKIP_1) | instid1(VALU_DEP_1)
	v_sub_f32_e32 v15, v19, v21
	v_mul_f32_e32 v20, v19, v19
	v_fma_f32 v22, v19, v19, -v20
	s_delay_alu instid0(VALU_DEP_3) | instskip(NEXT) | instid1(VALU_DEP_1)
	v_sub_f32_e32 v21, v14, v15
	v_add_f32_e32 v14, v21, v21
	s_delay_alu instid0(VALU_DEP_1) | instskip(SKIP_1) | instid1(VALU_DEP_2)
	v_fmac_f32_e32 v22, v19, v14
	v_cvt_f64_f32_e32 v[14:15], v18
	v_add_f32_e32 v23, v20, v22
	s_delay_alu instid0(VALU_DEP_1) | instskip(SKIP_1) | instid1(VALU_DEP_1)
	v_fmaak_f32 v24, s10, v23, 0x3e91f4c4
	v_sub_f32_e32 v20, v23, v20
	v_dual_mul_f32 v27, v19, v23 :: v_dual_sub_f32 v20, v22, v20
	s_delay_alu instid0(VALU_DEP_3) | instskip(NEXT) | instid1(VALU_DEP_1)
	v_fmaak_f32 v24, v23, v24, 0x3ecccdef
	v_mul_f32_e32 v25, v23, v24
	s_delay_alu instid0(VALU_DEP_1) | instskip(NEXT) | instid1(VALU_DEP_1)
	v_fma_f32 v22, v23, v24, -v25
	v_fmac_f32_e32 v22, v20, v24
	s_delay_alu instid0(VALU_DEP_1) | instskip(SKIP_1) | instid1(VALU_DEP_2)
	v_add_f32_e32 v24, v25, v22
	v_frexp_exp_i32_f64_e32 v14, v[14:15]
	v_sub_f32_e32 v25, v24, v25
	s_delay_alu instid0(VALU_DEP_1) | instskip(SKIP_1) | instid1(VALU_DEP_2)
	v_sub_f32_e32 v15, v22, v25
	v_fma_f32 v25, v23, v19, -v27
	v_add_f32_e32 v15, 0x31739010, v15
	s_delay_alu instid0(VALU_DEP_2) | instskip(SKIP_1) | instid1(VALU_DEP_2)
	v_dual_add_f32 v26, 0x3f2aaaaa, v24 :: v_dual_fmac_f32 v25, v23, v21
	v_ldexp_f32 v21, v21, 1
	v_dual_add_f32 v22, 0xbf2aaaaa, v26 :: v_dual_fmac_f32 v25, v20, v19
	s_delay_alu instid0(VALU_DEP_1) | instskip(NEXT) | instid1(VALU_DEP_1)
	v_sub_f32_e32 v22, v24, v22
	v_add_f32_e32 v15, v15, v22
	s_delay_alu instid0(VALU_DEP_3) | instskip(NEXT) | instid1(VALU_DEP_2)
	v_add_f32_e32 v22, v27, v25
	v_add_f32_e32 v20, v26, v15
	v_subrev_co_ci_u32_e64 v14, null, 0, v14, vcc_lo
	s_delay_alu instid0(VALU_DEP_2) | instskip(NEXT) | instid1(VALU_DEP_4)
	v_sub_f32_e32 v23, v26, v20
	v_mul_f32_e32 v24, v22, v20
	s_delay_alu instid0(VALU_DEP_3) | instskip(SKIP_1) | instid1(VALU_DEP_4)
	v_cvt_f32_i32_e32 v14, v14
	v_sub_f32_e32 v26, v22, v27
	v_add_f32_e32 v15, v15, v23
	s_delay_alu instid0(VALU_DEP_4) | instskip(NEXT) | instid1(VALU_DEP_3)
	v_fma_f32 v23, v22, v20, -v24
	v_sub_f32_e32 v25, v25, v26
	s_delay_alu instid0(VALU_DEP_2) | instskip(SKIP_1) | instid1(VALU_DEP_2)
	v_fmac_f32_e32 v23, v22, v15
	v_ldexp_f32 v15, v19, 1
	v_fmac_f32_e32 v23, v25, v20
	s_delay_alu instid0(VALU_DEP_1) | instskip(NEXT) | instid1(VALU_DEP_1)
	v_add_f32_e32 v19, v24, v23
	v_add_f32_e32 v20, v15, v19
	s_delay_alu instid0(VALU_DEP_1) | instskip(NEXT) | instid1(VALU_DEP_1)
	v_dual_sub_f32 v15, v20, v15 :: v_dual_sub_f32 v22, v19, v24
	v_dual_mul_f32 v24, 0x3f317218, v14 :: v_dual_sub_f32 v15, v19, v15
	s_delay_alu instid0(VALU_DEP_2) | instskip(NEXT) | instid1(VALU_DEP_2)
	v_sub_f32_e32 v22, v23, v22
	v_fma_f32 v23, 0x3f317218, v14, -v24
	s_delay_alu instid0(VALU_DEP_2) | instskip(NEXT) | instid1(VALU_DEP_1)
	v_add_f32_e32 v19, v21, v22
	v_dual_fmac_f32 v23, 0xb102e308, v14 :: v_dual_add_f32 v14, v19, v15
	s_delay_alu instid0(VALU_DEP_1) | instskip(NEXT) | instid1(VALU_DEP_2)
	v_add_f32_e32 v15, v24, v23
	v_add_f32_e32 v19, v20, v14
	s_delay_alu instid0(VALU_DEP_1) | instskip(SKIP_1) | instid1(VALU_DEP_1)
	v_add_f32_e32 v21, v15, v19
	v_sub_f32_e32 v24, v15, v24
	v_dual_sub_f32 v22, v21, v15 :: v_dual_sub_f32 v23, v23, v24
	s_delay_alu instid0(VALU_DEP_1) | instskip(NEXT) | instid1(VALU_DEP_1)
	v_dual_sub_f32 v25, v21, v22 :: v_dual_sub_f32 v20, v19, v20
	v_dual_sub_f32 v19, v19, v22 :: v_dual_sub_f32 v14, v14, v20
	s_delay_alu instid0(VALU_DEP_2) | instskip(NEXT) | instid1(VALU_DEP_2)
	v_sub_f32_e32 v15, v15, v25
	v_add_f32_e32 v20, v23, v14
	s_delay_alu instid0(VALU_DEP_2) | instskip(NEXT) | instid1(VALU_DEP_2)
	v_add_f32_e32 v15, v19, v15
	v_sub_f32_e32 v19, v20, v23
	s_delay_alu instid0(VALU_DEP_2) | instskip(NEXT) | instid1(VALU_DEP_2)
	v_add_f32_e32 v15, v20, v15
	v_sub_f32_e32 v20, v20, v19
	s_delay_alu instid0(VALU_DEP_2) | instskip(NEXT) | instid1(VALU_DEP_2)
	v_add_f32_e32 v22, v21, v15
	v_dual_sub_f32 v14, v14, v19 :: v_dual_sub_f32 v19, v23, v20
	s_delay_alu instid0(VALU_DEP_2) | instskip(NEXT) | instid1(VALU_DEP_1)
	v_sub_f32_e32 v20, v22, v21
	v_dual_add_f32 v14, v14, v19 :: v_dual_sub_f32 v15, v15, v20
	s_delay_alu instid0(VALU_DEP_1) | instskip(NEXT) | instid1(VALU_DEP_1)
	v_add_f32_e32 v14, v14, v15
	v_add_f32_e32 v15, v22, v14
	s_delay_alu instid0(VALU_DEP_1) | instskip(NEXT) | instid1(VALU_DEP_1)
	v_dual_sub_f32 v19, v15, v22 :: v_dual_mul_f32 v20, v17, v15
	v_sub_f32_e32 v14, v14, v19
	s_delay_alu instid0(VALU_DEP_2) | instskip(SKIP_1) | instid1(VALU_DEP_2)
	v_fma_f32 v15, v17, v15, -v20
	v_cmp_class_f32_e64 vcc_lo, v20, 0x204
	v_fmac_f32_e32 v15, v17, v14
	s_delay_alu instid0(VALU_DEP_1) | instskip(SKIP_1) | instid1(VALU_DEP_1)
	v_add_f32_e32 v14, v20, v15
	s_wait_alu 0xfffd
	v_cndmask_b32_e32 v19, v14, v20, vcc_lo
	s_delay_alu instid0(VALU_DEP_1) | instskip(SKIP_2) | instid1(VALU_DEP_1)
	v_cmp_eq_f32_e32 vcc_lo, 0x42b17218, v19
	s_wait_alu 0xfffd
	v_cndmask_b32_e64 v21, 0, 0x37000000, vcc_lo
	v_sub_f32_e32 v22, v19, v21
	s_delay_alu instid0(VALU_DEP_1) | instskip(SKIP_1) | instid1(VALU_DEP_2)
	v_mul_f32_e32 v23, 0x3fb8aa3b, v22
	v_cmp_nlt_f32_e64 s1, 0x42b17218, v22
	v_fma_f32 v24, 0x3fb8aa3b, v22, -v23
	v_rndne_f32_e32 v25, v23
	s_delay_alu instid0(VALU_DEP_1) | instskip(SKIP_3) | instid1(VALU_DEP_4)
	v_dual_fmac_f32 v24, 0x32a5705f, v22 :: v_dual_sub_f32 v23, v23, v25
	v_sub_f32_e32 v14, v14, v20
	v_cvt_i32_f32_e32 v20, v25
	v_cmp_neq_f32_e64 vcc_lo, 0x7f800000, |v19|
	v_add_f32_e32 v23, v23, v24
	s_delay_alu instid0(VALU_DEP_4) | instskip(NEXT) | instid1(VALU_DEP_2)
	v_sub_f32_e32 v14, v15, v14
	v_exp_f32_e32 v23, v23
	s_wait_alu 0xfffd
	s_delay_alu instid0(VALU_DEP_1) | instskip(SKIP_1) | instid1(VALU_DEP_2)
	v_cndmask_b32_e32 v14, 0, v14, vcc_lo
	v_cmp_ngt_f32_e32 vcc_lo, 0xc2ce8ed0, v22
	v_add_f32_e32 v14, v21, v14
	s_delay_alu instid0(TRANS32_DEP_1) | instskip(SKIP_1) | instid1(VALU_DEP_1)
	v_ldexp_f32 v15, v23, v20
	s_wait_alu 0xfffd
	v_cndmask_b32_e32 v15, 0, v15, vcc_lo
	v_cmp_gt_f32_e32 vcc_lo, 1.0, v18
	s_wait_alu 0xf1ff
	s_delay_alu instid0(VALU_DEP_2)
	v_cndmask_b32_e64 v15, 0x7f800000, v15, s1
	s_xor_b32 s1, s2, vcc_lo
	v_cmp_neq_f32_e64 s2, 1.0, v18
	s_wait_alu 0xfffe
	v_cndmask_b32_e64 v19, 0x7f800000, 0, s1
	v_cmp_gt_f32_e32 vcc_lo, 0, v17
	v_cmp_eq_f32_e64 s1, 0, v18
	v_fma_f32 v14, v15, v14, v15
	s_wait_alu 0xf1ff
	v_cndmask_b32_e64 v19, 1.0, v19, s2
	v_cmp_class_f32_e64 s2, v15, 0x204
	s_xor_b32 s8, vcc_lo, s1
	v_cndmask_b32_e64 v14, v14, v15, s2
	s_wait_alu 0xfffe
	v_cndmask_b32_e64 v15, 0x7f800000, 0, s8
	v_cmp_class_f32_e64 s8, v17, 0x204
	v_cmp_eq_f32_e64 s2, 0x7f800000, v18
	s_wait_alu 0xf1ff
	s_delay_alu instid0(VALU_DEP_2) | instskip(SKIP_2) | instid1(VALU_DEP_1)
	v_cndmask_b32_e64 v14, |v14|, v19, s8
	s_or_b32 vcc_lo, s1, s2
	s_wait_alu 0xfffe
	v_cndmask_b32_e32 v14, v14, v15, vcc_lo
	v_cmp_o_f32_e32 vcc_lo, v18, v17
	s_wait_alu 0xfffd
	s_delay_alu instid0(VALU_DEP_2) | instskip(NEXT) | instid1(VALU_DEP_1)
	v_cndmask_b32_e32 v14, 0x7fc00000, v14, vcc_lo
	v_mul_f32_e32 v14, v16, v14
	s_delay_alu instid0(VALU_DEP_1) | instskip(NEXT) | instid1(VALU_DEP_1)
	v_mul_f32_e32 v14, v9, v14
	v_div_scale_f32 v15, null, v13, v13, v14
	s_delay_alu instid0(VALU_DEP_1) | instskip(NEXT) | instid1(TRANS32_DEP_1)
	v_rcp_f32_e32 v16, v15
	v_fma_f32 v17, -v15, v16, 1.0
	s_delay_alu instid0(VALU_DEP_1) | instskip(SKIP_1) | instid1(VALU_DEP_1)
	v_fmac_f32_e32 v16, v17, v16
	v_div_scale_f32 v17, vcc_lo, v14, v13, v14
	v_mul_f32_e32 v18, v17, v16
	s_delay_alu instid0(VALU_DEP_1) | instskip(NEXT) | instid1(VALU_DEP_1)
	v_fma_f32 v19, -v15, v18, v17
	v_fmac_f32_e32 v18, v19, v16
	s_delay_alu instid0(VALU_DEP_1) | instskip(SKIP_1) | instid1(VALU_DEP_1)
	v_fma_f32 v15, -v15, v18, v17
	s_wait_alu 0xfffd
	v_div_fmas_f32 v15, v15, v16, v18
	s_delay_alu instid0(VALU_DEP_1)
	v_div_fixup_f32 v14, v15, v13, v14
	s_branch .LBB35_11
.LBB35_14:
	s_endpgm
	.section	.rodata,"a",@progbits
	.p2align	6, 0x0
	.amdhsa_kernel _ZN2at6native12_GLOBAL__N_131cdist_backward_kernel_cuda_implIfNS1_5distsIfE1pEEEvPT_PKS6_S9_S9_S9_S6_lllllll
		.amdhsa_group_segment_fixed_size 0
		.amdhsa_private_segment_fixed_size 0
		.amdhsa_kernarg_size 360
		.amdhsa_user_sgpr_count 2
		.amdhsa_user_sgpr_dispatch_ptr 0
		.amdhsa_user_sgpr_queue_ptr 0
		.amdhsa_user_sgpr_kernarg_segment_ptr 1
		.amdhsa_user_sgpr_dispatch_id 0
		.amdhsa_user_sgpr_private_segment_size 0
		.amdhsa_wavefront_size32 1
		.amdhsa_uses_dynamic_stack 0
		.amdhsa_enable_private_segment 0
		.amdhsa_system_sgpr_workgroup_id_x 1
		.amdhsa_system_sgpr_workgroup_id_y 1
		.amdhsa_system_sgpr_workgroup_id_z 1
		.amdhsa_system_sgpr_workgroup_info 0
		.amdhsa_system_vgpr_workitem_id 1
		.amdhsa_next_free_vgpr 35
		.amdhsa_next_free_sgpr 32
		.amdhsa_reserve_vcc 1
		.amdhsa_float_round_mode_32 0
		.amdhsa_float_round_mode_16_64 0
		.amdhsa_float_denorm_mode_32 3
		.amdhsa_float_denorm_mode_16_64 3
		.amdhsa_fp16_overflow 0
		.amdhsa_workgroup_processor_mode 1
		.amdhsa_memory_ordered 1
		.amdhsa_forward_progress 1
		.amdhsa_inst_pref_size 42
		.amdhsa_round_robin_scheduling 0
		.amdhsa_exception_fp_ieee_invalid_op 0
		.amdhsa_exception_fp_denorm_src 0
		.amdhsa_exception_fp_ieee_div_zero 0
		.amdhsa_exception_fp_ieee_overflow 0
		.amdhsa_exception_fp_ieee_underflow 0
		.amdhsa_exception_fp_ieee_inexact 0
		.amdhsa_exception_int_div_zero 0
	.end_amdhsa_kernel
	.section	.text._ZN2at6native12_GLOBAL__N_131cdist_backward_kernel_cuda_implIfNS1_5distsIfE1pEEEvPT_PKS6_S9_S9_S9_S6_lllllll,"axG",@progbits,_ZN2at6native12_GLOBAL__N_131cdist_backward_kernel_cuda_implIfNS1_5distsIfE1pEEEvPT_PKS6_S9_S9_S9_S6_lllllll,comdat
.Lfunc_end35:
	.size	_ZN2at6native12_GLOBAL__N_131cdist_backward_kernel_cuda_implIfNS1_5distsIfE1pEEEvPT_PKS6_S9_S9_S9_S6_lllllll, .Lfunc_end35-_ZN2at6native12_GLOBAL__N_131cdist_backward_kernel_cuda_implIfNS1_5distsIfE1pEEEvPT_PKS6_S9_S9_S9_S6_lllllll
                                        ; -- End function
	.set _ZN2at6native12_GLOBAL__N_131cdist_backward_kernel_cuda_implIfNS1_5distsIfE1pEEEvPT_PKS6_S9_S9_S9_S6_lllllll.num_vgpr, 35
	.set _ZN2at6native12_GLOBAL__N_131cdist_backward_kernel_cuda_implIfNS1_5distsIfE1pEEEvPT_PKS6_S9_S9_S9_S6_lllllll.num_agpr, 0
	.set _ZN2at6native12_GLOBAL__N_131cdist_backward_kernel_cuda_implIfNS1_5distsIfE1pEEEvPT_PKS6_S9_S9_S9_S6_lllllll.numbered_sgpr, 32
	.set _ZN2at6native12_GLOBAL__N_131cdist_backward_kernel_cuda_implIfNS1_5distsIfE1pEEEvPT_PKS6_S9_S9_S9_S6_lllllll.num_named_barrier, 0
	.set _ZN2at6native12_GLOBAL__N_131cdist_backward_kernel_cuda_implIfNS1_5distsIfE1pEEEvPT_PKS6_S9_S9_S9_S6_lllllll.private_seg_size, 0
	.set _ZN2at6native12_GLOBAL__N_131cdist_backward_kernel_cuda_implIfNS1_5distsIfE1pEEEvPT_PKS6_S9_S9_S9_S6_lllllll.uses_vcc, 1
	.set _ZN2at6native12_GLOBAL__N_131cdist_backward_kernel_cuda_implIfNS1_5distsIfE1pEEEvPT_PKS6_S9_S9_S9_S6_lllllll.uses_flat_scratch, 0
	.set _ZN2at6native12_GLOBAL__N_131cdist_backward_kernel_cuda_implIfNS1_5distsIfE1pEEEvPT_PKS6_S9_S9_S9_S6_lllllll.has_dyn_sized_stack, 0
	.set _ZN2at6native12_GLOBAL__N_131cdist_backward_kernel_cuda_implIfNS1_5distsIfE1pEEEvPT_PKS6_S9_S9_S9_S6_lllllll.has_recursion, 0
	.set _ZN2at6native12_GLOBAL__N_131cdist_backward_kernel_cuda_implIfNS1_5distsIfE1pEEEvPT_PKS6_S9_S9_S9_S6_lllllll.has_indirect_call, 0
	.section	.AMDGPU.csdata,"",@progbits
; Kernel info:
; codeLenInByte = 5300
; TotalNumSgprs: 34
; NumVgprs: 35
; ScratchSize: 0
; MemoryBound: 0
; FloatMode: 240
; IeeeMode: 1
; LDSByteSize: 0 bytes/workgroup (compile time only)
; SGPRBlocks: 0
; VGPRBlocks: 4
; NumSGPRsForWavesPerEU: 34
; NumVGPRsForWavesPerEU: 35
; Occupancy: 16
; WaveLimiterHint : 0
; COMPUTE_PGM_RSRC2:SCRATCH_EN: 0
; COMPUTE_PGM_RSRC2:USER_SGPR: 2
; COMPUTE_PGM_RSRC2:TRAP_HANDLER: 0
; COMPUTE_PGM_RSRC2:TGID_X_EN: 1
; COMPUTE_PGM_RSRC2:TGID_Y_EN: 1
; COMPUTE_PGM_RSRC2:TGID_Z_EN: 1
; COMPUTE_PGM_RSRC2:TIDIG_COMP_CNT: 1
	.section	.text._ZN2at6native12_GLOBAL__N_131cdist_backward_kernel_cuda_implIfNS1_5distsIfE3oneEEEvPT_PKS6_S9_S9_S9_S6_lllllll,"axG",@progbits,_ZN2at6native12_GLOBAL__N_131cdist_backward_kernel_cuda_implIfNS1_5distsIfE3oneEEEvPT_PKS6_S9_S9_S9_S6_lllllll,comdat
	.globl	_ZN2at6native12_GLOBAL__N_131cdist_backward_kernel_cuda_implIfNS1_5distsIfE3oneEEEvPT_PKS6_S9_S9_S9_S6_lllllll ; -- Begin function _ZN2at6native12_GLOBAL__N_131cdist_backward_kernel_cuda_implIfNS1_5distsIfE3oneEEEvPT_PKS6_S9_S9_S9_S6_lllllll
	.p2align	8
	.type	_ZN2at6native12_GLOBAL__N_131cdist_backward_kernel_cuda_implIfNS1_5distsIfE3oneEEEvPT_PKS6_S9_S9_S9_S6_lllllll,@function
_ZN2at6native12_GLOBAL__N_131cdist_backward_kernel_cuda_implIfNS1_5distsIfE3oneEEEvPT_PKS6_S9_S9_S9_S6_lllllll: ; @_ZN2at6native12_GLOBAL__N_131cdist_backward_kernel_cuda_implIfNS1_5distsIfE3oneEEEvPT_PKS6_S9_S9_S9_S6_lllllll
; %bb.0:
	s_clause 0x1
	s_load_b64 s[2:3], s[0:1], 0x70
	s_load_b256 s[4:11], s[0:1], 0x30
	s_and_b32 s12, ttmp7, 0xffff
	v_bfe_u32 v1, v0, 10, 10
	s_lshr_b32 s13, ttmp7, 16
	s_wait_kmcnt 0x0
	s_mul_i32 s2, s2, s12
	s_lshr_b32 s12, s3, 16
	s_add_co_i32 s2, s2, s13
	s_delay_alu instid0(SALU_CYCLE_1) | instskip(SKIP_2) | instid1(VALU_DEP_1)
	v_mad_co_u64_u32 v[2:3], null, s2, s12, v[1:2]
	s_mov_b32 s2, exec_lo
	v_ashrrev_i32_e32 v3, 31, v2
	v_cmpx_gt_i64_e64 s[10:11], v[2:3]
	s_cbranch_execz .LBB36_12
; %bb.1:
	v_and_b32_e32 v0, 0x3ff, v0
	s_and_b32 s3, s3, 0xffff
	s_load_b256 s[12:19], s[0:1], 0x50
	s_delay_alu instid0(VALU_DEP_1) | instskip(NEXT) | instid1(VALU_DEP_1)
	v_mad_co_u64_u32 v[0:1], null, ttmp9, s3, v[0:1]
	v_ashrrev_i32_e32 v1, 31, v0
	s_delay_alu instid0(VALU_DEP_1)
	v_cmp_gt_i64_e32 vcc_lo, s[8:9], v[0:1]
	s_and_b32 exec_lo, exec_lo, vcc_lo
	s_cbranch_execz .LBB36_12
; %bb.2:
	s_wait_kmcnt 0x0
	v_or_b32_e32 v5, s13, v3
	v_mov_b32_e32 v4, 0
	s_delay_alu instid0(VALU_DEP_1)
	v_cmp_ne_u64_e32 vcc_lo, 0, v[4:5]
                                        ; implicit-def: $vgpr4_vgpr5
	s_and_saveexec_b32 s2, vcc_lo
	s_wait_alu 0xfffe
	s_xor_b32 s20, exec_lo, s2
	s_cbranch_execz .LBB36_4
; %bb.3:
	s_ashr_i32 s10, s13, 31
	s_mov_b32 s29, 0
	s_wait_alu 0xfffe
	s_mov_b32 s11, s10
	v_ashrrev_i32_e32 v10, 31, v3
	s_wait_alu 0xfffe
	s_add_nc_u64 s[18:19], s[12:13], s[10:11]
	s_delay_alu instid0(SALU_CYCLE_1) | instskip(NEXT) | instid1(VALU_DEP_1)
	s_xor_b64 s[18:19], s[18:19], s[10:11]
	v_add_co_u32 v4, vcc_lo, v2, v10
	s_cvt_f32_u32 s2, s18
	s_cvt_f32_u32 s11, s19
	s_sub_nc_u64 s[24:25], 0, s[18:19]
	v_add_co_ci_u32_e64 v5, null, v3, v10, vcc_lo
	s_wait_alu 0xfffe
	s_fmamk_f32 s2, s11, 0x4f800000, s2
	v_xor_b32_e32 v11, v4, v10
	s_delay_alu instid0(VALU_DEP_2) | instskip(SKIP_2) | instid1(TRANS32_DEP_1)
	v_xor_b32_e32 v12, v5, v10
	s_wait_alu 0xfffe
	v_s_rcp_f32 s2, s2
	s_mul_f32 s2, s2, 0x5f7ffffc
	s_wait_alu 0xfffe
	s_delay_alu instid0(SALU_CYCLE_2) | instskip(SKIP_1) | instid1(SALU_CYCLE_2)
	s_mul_f32 s11, s2, 0x2f800000
	s_wait_alu 0xfffe
	s_trunc_f32 s11, s11
	s_wait_alu 0xfffe
	s_delay_alu instid0(SALU_CYCLE_2) | instskip(SKIP_2) | instid1(SALU_CYCLE_1)
	s_fmamk_f32 s2, s11, 0xcf800000, s2
	s_cvt_u32_f32 s23, s11
	s_wait_alu 0xfffe
	s_cvt_u32_f32 s22, s2
	s_delay_alu instid0(SALU_CYCLE_3) | instskip(NEXT) | instid1(SALU_CYCLE_1)
	s_mul_u64 s[26:27], s[24:25], s[22:23]
	s_mul_hi_u32 s31, s22, s27
	s_mul_i32 s30, s22, s27
	s_mul_hi_u32 s28, s22, s26
	s_mul_i32 s11, s23, s26
	s_add_nc_u64 s[30:31], s[28:29], s[30:31]
	s_mul_hi_u32 s2, s23, s26
	s_mul_hi_u32 s21, s23, s27
	s_wait_alu 0xfffe
	s_add_co_u32 s11, s30, s11
	s_add_co_ci_u32 s28, s31, s2
	s_mul_i32 s26, s23, s27
	s_add_co_ci_u32 s27, s21, 0
	s_delay_alu instid0(SALU_CYCLE_1) | instskip(NEXT) | instid1(SALU_CYCLE_1)
	s_add_nc_u64 s[26:27], s[28:29], s[26:27]
	s_add_co_u32 s22, s22, s26
	s_cselect_b32 s2, -1, 0
	s_wait_alu 0xfffe
	s_cmp_lg_u32 s2, 0
	s_add_co_ci_u32 s23, s23, s27
	s_delay_alu instid0(SALU_CYCLE_1) | instskip(NEXT) | instid1(SALU_CYCLE_1)
	s_mul_u64 s[24:25], s[24:25], s[22:23]
	s_mul_hi_u32 s27, s22, s25
	s_mul_i32 s26, s22, s25
	s_mul_hi_u32 s28, s22, s24
	s_mul_i32 s11, s23, s24
	s_add_nc_u64 s[26:27], s[28:29], s[26:27]
	s_mul_hi_u32 s2, s23, s24
	s_mul_hi_u32 s21, s23, s25
	s_wait_alu 0xfffe
	s_add_co_u32 s11, s26, s11
	s_add_co_ci_u32 s28, s27, s2
	s_mul_i32 s24, s23, s25
	s_add_co_ci_u32 s25, s21, 0
	s_delay_alu instid0(SALU_CYCLE_1) | instskip(NEXT) | instid1(SALU_CYCLE_1)
	s_add_nc_u64 s[24:25], s[28:29], s[24:25]
	s_add_co_u32 s2, s22, s24
	s_cselect_b32 s11, -1, 0
	s_wait_alu 0xfffe
	v_mul_hi_u32 v13, v11, s2
	s_cmp_lg_u32 s11, 0
	v_mad_co_u64_u32 v[6:7], null, v12, s2, 0
	s_add_co_ci_u32 s11, s23, s25
	s_wait_alu 0xfffe
	v_mad_co_u64_u32 v[4:5], null, v11, s11, 0
	v_mad_co_u64_u32 v[8:9], null, v12, s11, 0
	s_delay_alu instid0(VALU_DEP_2) | instskip(SKIP_1) | instid1(VALU_DEP_3)
	v_add_co_u32 v4, vcc_lo, v13, v4
	s_wait_alu 0xfffd
	v_add_co_ci_u32_e64 v5, null, 0, v5, vcc_lo
	s_delay_alu instid0(VALU_DEP_2) | instskip(SKIP_1) | instid1(VALU_DEP_2)
	v_add_co_u32 v4, vcc_lo, v4, v6
	s_wait_alu 0xfffd
	v_add_co_ci_u32_e32 v4, vcc_lo, v5, v7, vcc_lo
	s_wait_alu 0xfffd
	v_add_co_ci_u32_e32 v5, vcc_lo, 0, v9, vcc_lo
	s_delay_alu instid0(VALU_DEP_2) | instskip(SKIP_1) | instid1(VALU_DEP_2)
	v_add_co_u32 v6, vcc_lo, v4, v8
	s_wait_alu 0xfffd
	v_add_co_ci_u32_e64 v7, null, 0, v5, vcc_lo
	s_delay_alu instid0(VALU_DEP_2) | instskip(SKIP_1) | instid1(VALU_DEP_3)
	v_mul_lo_u32 v8, s19, v6
	v_mad_co_u64_u32 v[4:5], null, s18, v6, 0
	v_mul_lo_u32 v9, s18, v7
	s_delay_alu instid0(VALU_DEP_2) | instskip(NEXT) | instid1(VALU_DEP_2)
	v_sub_co_u32 v4, vcc_lo, v11, v4
	v_add3_u32 v5, v5, v9, v8
	v_add_co_u32 v9, s2, v6, 2
	s_wait_alu 0xf1ff
	v_add_co_ci_u32_e64 v11, null, 0, v7, s2
	s_delay_alu instid0(VALU_DEP_3) | instskip(SKIP_3) | instid1(VALU_DEP_3)
	v_sub_nc_u32_e32 v8, v12, v5
	v_sub_co_u32 v13, s2, v4, s18
	s_wait_alu 0xfffd
	v_sub_co_ci_u32_e64 v5, null, v12, v5, vcc_lo
	v_subrev_co_ci_u32_e64 v8, null, s19, v8, vcc_lo
	s_delay_alu instid0(VALU_DEP_3) | instskip(SKIP_1) | instid1(VALU_DEP_2)
	v_cmp_le_u32_e32 vcc_lo, s18, v13
	s_wait_alu 0xf1ff
	v_subrev_co_ci_u32_e64 v8, null, 0, v8, s2
	s_wait_alu 0xfffd
	v_cndmask_b32_e64 v12, 0, -1, vcc_lo
	s_delay_alu instid0(VALU_DEP_2)
	v_cmp_le_u32_e32 vcc_lo, s19, v8
	s_wait_alu 0xfffd
	v_cndmask_b32_e64 v13, 0, -1, vcc_lo
	v_cmp_le_u32_e32 vcc_lo, s18, v4
	s_wait_alu 0xfffd
	v_cndmask_b32_e64 v4, 0, -1, vcc_lo
	;; [unrolled: 3-line block ×3, first 2 shown]
	v_cmp_eq_u32_e32 vcc_lo, s19, v8
	s_wait_alu 0xfffd
	v_cndmask_b32_e32 v8, v13, v12, vcc_lo
	v_add_co_u32 v12, vcc_lo, v6, 1
	s_wait_alu 0xfffd
	v_add_co_ci_u32_e64 v13, null, 0, v7, vcc_lo
	v_cmp_eq_u32_e32 vcc_lo, s19, v5
	s_wait_alu 0xfffd
	v_cndmask_b32_e32 v4, v14, v4, vcc_lo
	v_cmp_ne_u32_e32 vcc_lo, 0, v8
	v_xor_b32_e32 v8, s10, v10
	s_wait_alu 0xfffd
	v_cndmask_b32_e32 v5, v13, v11, vcc_lo
	v_cmp_ne_u32_e64 s2, 0, v4
	v_cndmask_b32_e32 v4, v12, v9, vcc_lo
	s_wait_alu 0xf1ff
	s_delay_alu instid0(VALU_DEP_2) | instskip(NEXT) | instid1(VALU_DEP_2)
	v_cndmask_b32_e64 v5, v7, v5, s2
	v_cndmask_b32_e64 v4, v6, v4, s2
	s_delay_alu instid0(VALU_DEP_2) | instskip(NEXT) | instid1(VALU_DEP_2)
	v_xor_b32_e32 v5, v5, v8
	v_xor_b32_e32 v4, v4, v8
	s_delay_alu instid0(VALU_DEP_1) | instskip(SKIP_1) | instid1(VALU_DEP_3)
	v_sub_co_u32 v4, vcc_lo, v4, v8
	s_wait_alu 0xfffd
	v_sub_co_ci_u32_e64 v5, null, v5, v8, vcc_lo
.LBB36_4:
	s_and_not1_saveexec_b32 s2, s20
	s_cbranch_execz .LBB36_6
; %bb.5:
	v_cvt_f32_u32_e32 v4, s12
	s_sub_co_i32 s10, 0, s12
	s_delay_alu instid0(VALU_DEP_1) | instskip(NEXT) | instid1(TRANS32_DEP_1)
	v_rcp_iflag_f32_e32 v4, v4
	v_mul_f32_e32 v4, 0x4f7ffffe, v4
	s_delay_alu instid0(VALU_DEP_1) | instskip(SKIP_1) | instid1(VALU_DEP_1)
	v_cvt_u32_f32_e32 v4, v4
	s_wait_alu 0xfffe
	v_mul_lo_u32 v5, s10, v4
	s_delay_alu instid0(VALU_DEP_1) | instskip(NEXT) | instid1(VALU_DEP_1)
	v_mul_hi_u32 v5, v4, v5
	v_add_nc_u32_e32 v4, v4, v5
	s_delay_alu instid0(VALU_DEP_1) | instskip(NEXT) | instid1(VALU_DEP_1)
	v_mul_hi_u32 v4, v2, v4
	v_mul_lo_u32 v5, v4, s12
	v_add_nc_u32_e32 v6, 1, v4
	s_delay_alu instid0(VALU_DEP_2) | instskip(NEXT) | instid1(VALU_DEP_1)
	v_sub_nc_u32_e32 v5, v2, v5
	v_subrev_nc_u32_e32 v7, s12, v5
	v_cmp_le_u32_e32 vcc_lo, s12, v5
	s_wait_alu 0xfffd
	s_delay_alu instid0(VALU_DEP_2) | instskip(NEXT) | instid1(VALU_DEP_1)
	v_dual_cndmask_b32 v5, v5, v7 :: v_dual_cndmask_b32 v4, v4, v6
	v_cmp_le_u32_e32 vcc_lo, s12, v5
	s_delay_alu instid0(VALU_DEP_2) | instskip(SKIP_1) | instid1(VALU_DEP_1)
	v_dual_mov_b32 v5, 0 :: v_dual_add_nc_u32 v6, 1, v4
	s_wait_alu 0xfffd
	v_cndmask_b32_e32 v4, v4, v6, vcc_lo
.LBB36_6:
	s_wait_alu 0xfffe
	s_or_b32 exec_lo, exec_lo, s2
	v_mul_lo_u32 v7, v5, s12
	s_delay_alu instid0(VALU_DEP_2)
	v_mul_lo_u32 v8, v4, s13
	v_mad_co_u64_u32 v[5:6], null, v4, s12, 0
	s_add_nc_u64 s[10:11], s[0:1], 0x68
	v_add3_u32 v6, v6, v8, v7
	v_sub_co_u32 v8, vcc_lo, v2, v5
	s_wait_alu 0xfffd
	s_delay_alu instid0(VALU_DEP_2) | instskip(SKIP_1) | instid1(VALU_DEP_2)
	v_sub_co_ci_u32_e64 v9, null, v3, v6, vcc_lo
	v_mov_b32_e32 v6, 0
	v_or_b32_e32 v7, s7, v9
	s_delay_alu instid0(VALU_DEP_1)
	v_cmp_ne_u64_e32 vcc_lo, 0, v[6:7]
                                        ; implicit-def: $vgpr6_vgpr7
	s_and_saveexec_b32 s2, vcc_lo
	s_wait_alu 0xfffe
	s_xor_b32 s20, exec_lo, s2
	s_cbranch_execz .LBB36_8
; %bb.7:
	s_ashr_i32 s12, s7, 31
	s_mov_b32 s29, 0
	s_wait_alu 0xfffe
	s_mov_b32 s13, s12
	v_ashrrev_i32_e32 v14, 31, v9
	s_wait_alu 0xfffe
	s_add_nc_u64 s[18:19], s[6:7], s[12:13]
	s_wait_alu 0xfffe
	s_xor_b64 s[18:19], s[18:19], s[12:13]
	v_add_co_u32 v6, vcc_lo, v8, v14
	s_wait_alu 0xfffe
	s_cvt_f32_u32 s2, s18
	s_cvt_f32_u32 s13, s19
	s_sub_nc_u64 s[24:25], 0, s[18:19]
	s_wait_alu 0xfffd
	v_add_co_ci_u32_e64 v7, null, v9, v14, vcc_lo
	s_wait_alu 0xfffe
	s_fmamk_f32 s2, s13, 0x4f800000, s2
	v_xor_b32_e32 v15, v6, v14
	s_delay_alu instid0(VALU_DEP_2) | instskip(SKIP_2) | instid1(TRANS32_DEP_1)
	v_xor_b32_e32 v16, v7, v14
	s_wait_alu 0xfffe
	v_s_rcp_f32 s2, s2
	s_mul_f32 s2, s2, 0x5f7ffffc
	s_wait_alu 0xfffe
	s_delay_alu instid0(SALU_CYCLE_2) | instskip(SKIP_1) | instid1(SALU_CYCLE_2)
	s_mul_f32 s13, s2, 0x2f800000
	s_wait_alu 0xfffe
	s_trunc_f32 s13, s13
	s_wait_alu 0xfffe
	s_delay_alu instid0(SALU_CYCLE_2) | instskip(SKIP_2) | instid1(SALU_CYCLE_1)
	s_fmamk_f32 s2, s13, 0xcf800000, s2
	s_cvt_u32_f32 s23, s13
	s_wait_alu 0xfffe
	s_cvt_u32_f32 s22, s2
	s_delay_alu instid0(SALU_CYCLE_3) | instskip(NEXT) | instid1(SALU_CYCLE_1)
	s_mul_u64 s[26:27], s[24:25], s[22:23]
	s_mul_hi_u32 s31, s22, s27
	s_mul_i32 s30, s22, s27
	s_mul_hi_u32 s28, s22, s26
	s_mul_i32 s13, s23, s26
	s_add_nc_u64 s[30:31], s[28:29], s[30:31]
	s_mul_hi_u32 s2, s23, s26
	s_mul_hi_u32 s21, s23, s27
	s_wait_alu 0xfffe
	s_add_co_u32 s13, s30, s13
	s_add_co_ci_u32 s28, s31, s2
	s_mul_i32 s26, s23, s27
	s_add_co_ci_u32 s27, s21, 0
	s_delay_alu instid0(SALU_CYCLE_1) | instskip(NEXT) | instid1(SALU_CYCLE_1)
	s_add_nc_u64 s[26:27], s[28:29], s[26:27]
	s_add_co_u32 s22, s22, s26
	s_cselect_b32 s2, -1, 0
	s_wait_alu 0xfffe
	s_cmp_lg_u32 s2, 0
	s_add_co_ci_u32 s23, s23, s27
	s_delay_alu instid0(SALU_CYCLE_1) | instskip(NEXT) | instid1(SALU_CYCLE_1)
	s_mul_u64 s[24:25], s[24:25], s[22:23]
	s_mul_hi_u32 s27, s22, s25
	s_mul_i32 s26, s22, s25
	s_mul_hi_u32 s28, s22, s24
	s_mul_i32 s13, s23, s24
	s_add_nc_u64 s[26:27], s[28:29], s[26:27]
	s_mul_hi_u32 s2, s23, s24
	s_mul_hi_u32 s21, s23, s25
	s_wait_alu 0xfffe
	s_add_co_u32 s13, s26, s13
	s_add_co_ci_u32 s28, s27, s2
	s_mul_i32 s24, s23, s25
	s_add_co_ci_u32 s25, s21, 0
	s_delay_alu instid0(SALU_CYCLE_1) | instskip(NEXT) | instid1(SALU_CYCLE_1)
	s_add_nc_u64 s[24:25], s[28:29], s[24:25]
	s_add_co_u32 s2, s22, s24
	s_cselect_b32 s13, -1, 0
	s_wait_alu 0xfffe
	v_mul_hi_u32 v17, v15, s2
	s_cmp_lg_u32 s13, 0
	v_mad_co_u64_u32 v[10:11], null, v16, s2, 0
	s_add_co_ci_u32 s13, s23, s25
	s_wait_alu 0xfffe
	v_mad_co_u64_u32 v[6:7], null, v15, s13, 0
	v_mad_co_u64_u32 v[12:13], null, v16, s13, 0
	s_delay_alu instid0(VALU_DEP_2) | instskip(SKIP_1) | instid1(VALU_DEP_3)
	v_add_co_u32 v6, vcc_lo, v17, v6
	s_wait_alu 0xfffd
	v_add_co_ci_u32_e64 v7, null, 0, v7, vcc_lo
	s_delay_alu instid0(VALU_DEP_2) | instskip(SKIP_1) | instid1(VALU_DEP_2)
	v_add_co_u32 v6, vcc_lo, v6, v10
	s_wait_alu 0xfffd
	v_add_co_ci_u32_e32 v6, vcc_lo, v7, v11, vcc_lo
	s_wait_alu 0xfffd
	v_add_co_ci_u32_e32 v7, vcc_lo, 0, v13, vcc_lo
	s_delay_alu instid0(VALU_DEP_2) | instskip(SKIP_1) | instid1(VALU_DEP_2)
	v_add_co_u32 v10, vcc_lo, v6, v12
	s_wait_alu 0xfffd
	v_add_co_ci_u32_e64 v11, null, 0, v7, vcc_lo
	s_delay_alu instid0(VALU_DEP_2) | instskip(SKIP_1) | instid1(VALU_DEP_3)
	v_mul_lo_u32 v12, s19, v10
	v_mad_co_u64_u32 v[6:7], null, s18, v10, 0
	v_mul_lo_u32 v13, s18, v11
	s_delay_alu instid0(VALU_DEP_2) | instskip(NEXT) | instid1(VALU_DEP_2)
	v_sub_co_u32 v6, vcc_lo, v15, v6
	v_add3_u32 v7, v7, v13, v12
	v_add_co_u32 v13, s2, v10, 2
	s_wait_alu 0xf1ff
	v_add_co_ci_u32_e64 v15, null, 0, v11, s2
	s_delay_alu instid0(VALU_DEP_3) | instskip(SKIP_3) | instid1(VALU_DEP_3)
	v_sub_nc_u32_e32 v12, v16, v7
	v_sub_co_u32 v17, s2, v6, s18
	s_wait_alu 0xfffd
	v_sub_co_ci_u32_e64 v7, null, v16, v7, vcc_lo
	v_subrev_co_ci_u32_e64 v12, null, s19, v12, vcc_lo
	s_delay_alu instid0(VALU_DEP_3) | instskip(SKIP_1) | instid1(VALU_DEP_2)
	v_cmp_le_u32_e32 vcc_lo, s18, v17
	s_wait_alu 0xf1ff
	v_subrev_co_ci_u32_e64 v12, null, 0, v12, s2
	s_wait_alu 0xfffd
	v_cndmask_b32_e64 v16, 0, -1, vcc_lo
	s_delay_alu instid0(VALU_DEP_2)
	v_cmp_le_u32_e32 vcc_lo, s19, v12
	s_wait_alu 0xfffd
	v_cndmask_b32_e64 v17, 0, -1, vcc_lo
	v_cmp_le_u32_e32 vcc_lo, s18, v6
	s_wait_alu 0xfffd
	v_cndmask_b32_e64 v6, 0, -1, vcc_lo
	;; [unrolled: 3-line block ×3, first 2 shown]
	v_cmp_eq_u32_e32 vcc_lo, s19, v12
	s_wait_alu 0xfffd
	v_cndmask_b32_e32 v12, v17, v16, vcc_lo
	v_add_co_u32 v16, vcc_lo, v10, 1
	s_wait_alu 0xfffd
	v_add_co_ci_u32_e64 v17, null, 0, v11, vcc_lo
	v_cmp_eq_u32_e32 vcc_lo, s19, v7
	s_wait_alu 0xfffd
	v_cndmask_b32_e32 v6, v18, v6, vcc_lo
	v_cmp_ne_u32_e32 vcc_lo, 0, v12
	v_xor_b32_e32 v12, s12, v14
	s_wait_alu 0xfffd
	v_cndmask_b32_e32 v7, v17, v15, vcc_lo
	v_cmp_ne_u32_e64 s2, 0, v6
	v_cndmask_b32_e32 v6, v16, v13, vcc_lo
	s_wait_alu 0xf1ff
	s_delay_alu instid0(VALU_DEP_2) | instskip(NEXT) | instid1(VALU_DEP_2)
	v_cndmask_b32_e64 v7, v11, v7, s2
	v_cndmask_b32_e64 v6, v10, v6, s2
	s_delay_alu instid0(VALU_DEP_2) | instskip(NEXT) | instid1(VALU_DEP_2)
	v_xor_b32_e32 v7, v7, v12
	v_xor_b32_e32 v6, v6, v12
	s_delay_alu instid0(VALU_DEP_1) | instskip(SKIP_1) | instid1(VALU_DEP_3)
	v_sub_co_u32 v6, vcc_lo, v6, v12
	s_wait_alu 0xfffd
	v_sub_co_ci_u32_e64 v7, null, v7, v12, vcc_lo
.LBB36_8:
	s_or_saveexec_b32 s12, s20
	s_load_b32 s2, s[10:11], 0x0
	s_xor_b32 exec_lo, exec_lo, s12
	s_cbranch_execz .LBB36_10
; %bb.9:
	v_cvt_f32_u32_e32 v6, s6
	s_sub_co_i32 s10, 0, s6
	s_delay_alu instid0(VALU_DEP_1) | instskip(NEXT) | instid1(TRANS32_DEP_1)
	v_rcp_iflag_f32_e32 v6, v6
	v_mul_f32_e32 v6, 0x4f7ffffe, v6
	s_delay_alu instid0(VALU_DEP_1) | instskip(SKIP_1) | instid1(VALU_DEP_1)
	v_cvt_u32_f32_e32 v6, v6
	s_wait_alu 0xfffe
	v_mul_lo_u32 v7, s10, v6
	s_delay_alu instid0(VALU_DEP_1) | instskip(NEXT) | instid1(VALU_DEP_1)
	v_mul_hi_u32 v7, v6, v7
	v_add_nc_u32_e32 v6, v6, v7
	s_delay_alu instid0(VALU_DEP_1) | instskip(NEXT) | instid1(VALU_DEP_1)
	v_mul_hi_u32 v6, v8, v6
	v_mul_lo_u32 v7, v6, s6
	v_add_nc_u32_e32 v10, 1, v6
	s_delay_alu instid0(VALU_DEP_2) | instskip(NEXT) | instid1(VALU_DEP_1)
	v_sub_nc_u32_e32 v7, v8, v7
	v_subrev_nc_u32_e32 v11, s6, v7
	v_cmp_le_u32_e32 vcc_lo, s6, v7
	s_wait_alu 0xfffd
	s_delay_alu instid0(VALU_DEP_2) | instskip(NEXT) | instid1(VALU_DEP_1)
	v_dual_cndmask_b32 v7, v7, v11 :: v_dual_cndmask_b32 v6, v6, v10
	v_cmp_le_u32_e32 vcc_lo, s6, v7
	s_delay_alu instid0(VALU_DEP_2) | instskip(SKIP_1) | instid1(VALU_DEP_1)
	v_dual_mov_b32 v7, 0 :: v_dual_add_nc_u32 v10, 1, v6
	s_wait_alu 0xfffd
	v_cndmask_b32_e32 v6, v6, v10, vcc_lo
.LBB36_10:
	s_or_b32 exec_lo, exec_lo, s12
	s_load_b256 s[20:27], s[0:1], 0x0
	v_lshlrev_b64_e32 v[2:3], 2, v[2:3]
	v_ashrrev_i32_e32 v15, 31, v4
	v_mul_lo_u32 v20, v7, s6
	v_mul_lo_u32 v21, v6, s7
	v_mad_co_u64_u32 v[11:12], null, v6, s6, 0
	v_mul_lo_u32 v16, v4, s15
	v_mul_lo_u32 v17, v15, s14
	;; [unrolled: 1-line block ×4, first 2 shown]
	v_mad_co_u64_u32 v[13:14], null, v6, s8, 0
	v_add3_u32 v12, v12, v21, v20
	v_mul_lo_u32 v20, v4, s17
	v_mul_lo_u32 v21, v15, s16
	v_lshlrev_b64_e32 v[0:1], 2, v[0:1]
	s_lshl_b64 s[0:1], s[8:9], 2
	s_wait_kmcnt 0x0
	s_mul_i32 s2, s2, s3
	v_add3_u32 v14, v14, v19, v18
	v_add_co_u32 v2, vcc_lo, s22, v2
	s_wait_alu 0xfffd
	v_add_co_ci_u32_e64 v3, null, s23, v3, vcc_lo
	s_wait_alu 0xfffe
	s_ashr_i32 s3, s2, 31
	s_wait_alu 0xfffe
	s_lshl_b64 s[2:3], s[2:3], 2
	global_load_b32 v10, v[2:3], off
	v_mad_co_u64_u32 v[2:3], null, v4, s14, 0
	s_delay_alu instid0(VALU_DEP_1) | instskip(SKIP_3) | instid1(VALU_DEP_3)
	v_add3_u32 v3, v3, v16, v17
	v_sub_co_u32 v17, vcc_lo, v8, v11
	s_wait_alu 0xfffd
	v_sub_co_ci_u32_e64 v18, null, v9, v12, vcc_lo
	v_lshlrev_b64_e32 v[2:3], 2, v[2:3]
	v_lshlrev_b64_e32 v[8:9], 2, v[13:14]
	v_mul_lo_u32 v13, v17, s5
	s_delay_alu instid0(VALU_DEP_4)
	v_mul_lo_u32 v14, v18, s4
	v_mad_co_u64_u32 v[11:12], null, v17, s4, v[6:7]
	v_add_co_u32 v2, vcc_lo, s24, v2
	s_wait_alu 0xfffd
	v_add_co_ci_u32_e64 v3, null, s25, v3, vcc_lo
	v_mad_co_u64_u32 v[15:16], null, v4, s16, 0
	s_delay_alu instid0(VALU_DEP_4)
	v_add3_u32 v6, v14, v12, v13
	v_add_co_u32 v7, vcc_lo, v2, v8
	s_wait_alu 0xfffd
	v_add_co_ci_u32_e64 v8, null, v3, v9, vcc_lo
	v_mul_lo_u32 v12, s8, v5
	v_mul_lo_u32 v9, v6, s8
	v_mul_lo_u32 v19, v11, s9
	v_mad_co_u64_u32 v[13:14], null, v11, s8, 0
	v_mov_b32_e32 v11, 0
	v_mul_lo_u32 v4, v18, s8
	v_add_co_u32 v2, vcc_lo, v7, s0
	v_add3_u32 v16, v16, v20, v21
	s_delay_alu instid0(VALU_DEP_4)
	v_ashrrev_i64 v[11:12], 30, v[11:12]
	v_add3_u32 v14, v14, v19, v9
	v_mul_lo_u32 v9, v17, s9
	v_mad_co_u64_u32 v[17:18], null, v17, s8, 0
	s_wait_alu 0xfffd
	v_add_co_ci_u32_e64 v3, null, s1, v8, vcc_lo
	v_add_co_u32 v5, vcc_lo, v7, v0
	v_lshlrev_b64_e32 v[13:14], 2, v[13:14]
	s_wait_alu 0xfffd
	v_add_co_ci_u32_e64 v6, null, v8, v1, vcc_lo
	v_add_co_u32 v19, vcc_lo, s20, v11
	s_wait_alu 0xfffd
	v_add_co_ci_u32_e64 v20, null, s21, v12, vcc_lo
	v_lshlrev_b64_e32 v[11:12], 2, v[15:16]
	v_add3_u32 v18, v18, v9, v4
	v_add_co_u32 v4, vcc_lo, v19, v13
	s_wait_alu 0xfffd
	v_add_co_ci_u32_e64 v9, null, v20, v14, vcc_lo
	s_delay_alu instid0(VALU_DEP_3)
	v_lshlrev_b64_e32 v[13:14], 2, v[17:18]
	v_add_co_u32 v11, vcc_lo, s26, v11
	s_wait_alu 0xfffd
	v_add_co_ci_u32_e64 v12, null, s27, v12, vcc_lo
	s_mov_b32 s1, 0
	v_add_co_u32 v11, vcc_lo, v11, v13
	s_wait_alu 0xfffd
	v_add_co_ci_u32_e64 v12, null, v12, v14, vcc_lo
.LBB36_11:                              ; =>This Inner Loop Header: Depth=1
	v_add_co_u32 v13, vcc_lo, v7, v0
	s_wait_alu 0xfffd
	v_add_co_ci_u32_e64 v14, null, v8, v1, vcc_lo
	v_add_co_u32 v15, vcc_lo, v11, v0
	s_wait_alu 0xfffd
	v_add_co_ci_u32_e64 v16, null, v12, v1, vcc_lo
	global_load_b32 v13, v[13:14], off
	global_load_b32 v14, v[15:16], off
	s_wait_alu 0xfffe
	v_add_co_u32 v5, vcc_lo, v5, s2
	s_wait_alu 0xfffd
	v_add_co_ci_u32_e64 v6, null, s3, v6, vcc_lo
	s_wait_loadcnt 0x0
	v_sub_f32_e32 v13, v13, v14
	s_delay_alu instid0(VALU_DEP_1) | instskip(SKIP_2) | instid1(VALU_DEP_2)
	v_cmp_lt_f32_e64 s0, 0, v13
	v_cmp_gt_f32_e32 vcc_lo, 0, v13
	s_wait_alu 0xf1ff
	v_cndmask_b32_e64 v14, 0, 1, s0
	s_wait_alu 0xfffd
	s_delay_alu instid0(VALU_DEP_1) | instskip(SKIP_3) | instid1(VALU_DEP_3)
	v_subrev_co_ci_u32_e64 v15, null, 0, v14, vcc_lo
	v_add_co_u32 v13, vcc_lo, v4, v0
	s_wait_alu 0xfffd
	v_add_co_ci_u32_e64 v14, null, v9, v1, vcc_lo
	v_cvt_f32_i32_e32 v15, v15
	v_cmp_ge_u64_e32 vcc_lo, v[5:6], v[2:3]
	v_add_co_u32 v0, s0, v0, s2
	s_wait_alu 0xf1ff
	v_add_co_ci_u32_e64 v1, null, s3, v1, s0
	v_mul_f32_e32 v15, v10, v15
	s_or_b32 s1, vcc_lo, s1
	global_store_b32 v[13:14], v15, off
	s_wait_alu 0xfffe
	s_and_not1_b32 exec_lo, exec_lo, s1
	s_cbranch_execnz .LBB36_11
.LBB36_12:
	s_endpgm
	.section	.rodata,"a",@progbits
	.p2align	6, 0x0
	.amdhsa_kernel _ZN2at6native12_GLOBAL__N_131cdist_backward_kernel_cuda_implIfNS1_5distsIfE3oneEEEvPT_PKS6_S9_S9_S9_S6_lllllll
		.amdhsa_group_segment_fixed_size 0
		.amdhsa_private_segment_fixed_size 0
		.amdhsa_kernarg_size 360
		.amdhsa_user_sgpr_count 2
		.amdhsa_user_sgpr_dispatch_ptr 0
		.amdhsa_user_sgpr_queue_ptr 0
		.amdhsa_user_sgpr_kernarg_segment_ptr 1
		.amdhsa_user_sgpr_dispatch_id 0
		.amdhsa_user_sgpr_private_segment_size 0
		.amdhsa_wavefront_size32 1
		.amdhsa_uses_dynamic_stack 0
		.amdhsa_enable_private_segment 0
		.amdhsa_system_sgpr_workgroup_id_x 1
		.amdhsa_system_sgpr_workgroup_id_y 1
		.amdhsa_system_sgpr_workgroup_id_z 1
		.amdhsa_system_sgpr_workgroup_info 0
		.amdhsa_system_vgpr_workitem_id 1
		.amdhsa_next_free_vgpr 22
		.amdhsa_next_free_sgpr 32
		.amdhsa_reserve_vcc 1
		.amdhsa_float_round_mode_32 0
		.amdhsa_float_round_mode_16_64 0
		.amdhsa_float_denorm_mode_32 3
		.amdhsa_float_denorm_mode_16_64 3
		.amdhsa_fp16_overflow 0
		.amdhsa_workgroup_processor_mode 1
		.amdhsa_memory_ordered 1
		.amdhsa_forward_progress 1
		.amdhsa_inst_pref_size 23
		.amdhsa_round_robin_scheduling 0
		.amdhsa_exception_fp_ieee_invalid_op 0
		.amdhsa_exception_fp_denorm_src 0
		.amdhsa_exception_fp_ieee_div_zero 0
		.amdhsa_exception_fp_ieee_overflow 0
		.amdhsa_exception_fp_ieee_underflow 0
		.amdhsa_exception_fp_ieee_inexact 0
		.amdhsa_exception_int_div_zero 0
	.end_amdhsa_kernel
	.section	.text._ZN2at6native12_GLOBAL__N_131cdist_backward_kernel_cuda_implIfNS1_5distsIfE3oneEEEvPT_PKS6_S9_S9_S9_S6_lllllll,"axG",@progbits,_ZN2at6native12_GLOBAL__N_131cdist_backward_kernel_cuda_implIfNS1_5distsIfE3oneEEEvPT_PKS6_S9_S9_S9_S6_lllllll,comdat
.Lfunc_end36:
	.size	_ZN2at6native12_GLOBAL__N_131cdist_backward_kernel_cuda_implIfNS1_5distsIfE3oneEEEvPT_PKS6_S9_S9_S9_S6_lllllll, .Lfunc_end36-_ZN2at6native12_GLOBAL__N_131cdist_backward_kernel_cuda_implIfNS1_5distsIfE3oneEEEvPT_PKS6_S9_S9_S9_S6_lllllll
                                        ; -- End function
	.set _ZN2at6native12_GLOBAL__N_131cdist_backward_kernel_cuda_implIfNS1_5distsIfE3oneEEEvPT_PKS6_S9_S9_S9_S6_lllllll.num_vgpr, 22
	.set _ZN2at6native12_GLOBAL__N_131cdist_backward_kernel_cuda_implIfNS1_5distsIfE3oneEEEvPT_PKS6_S9_S9_S9_S6_lllllll.num_agpr, 0
	.set _ZN2at6native12_GLOBAL__N_131cdist_backward_kernel_cuda_implIfNS1_5distsIfE3oneEEEvPT_PKS6_S9_S9_S9_S6_lllllll.numbered_sgpr, 32
	.set _ZN2at6native12_GLOBAL__N_131cdist_backward_kernel_cuda_implIfNS1_5distsIfE3oneEEEvPT_PKS6_S9_S9_S9_S6_lllllll.num_named_barrier, 0
	.set _ZN2at6native12_GLOBAL__N_131cdist_backward_kernel_cuda_implIfNS1_5distsIfE3oneEEEvPT_PKS6_S9_S9_S9_S6_lllllll.private_seg_size, 0
	.set _ZN2at6native12_GLOBAL__N_131cdist_backward_kernel_cuda_implIfNS1_5distsIfE3oneEEEvPT_PKS6_S9_S9_S9_S6_lllllll.uses_vcc, 1
	.set _ZN2at6native12_GLOBAL__N_131cdist_backward_kernel_cuda_implIfNS1_5distsIfE3oneEEEvPT_PKS6_S9_S9_S9_S6_lllllll.uses_flat_scratch, 0
	.set _ZN2at6native12_GLOBAL__N_131cdist_backward_kernel_cuda_implIfNS1_5distsIfE3oneEEEvPT_PKS6_S9_S9_S9_S6_lllllll.has_dyn_sized_stack, 0
	.set _ZN2at6native12_GLOBAL__N_131cdist_backward_kernel_cuda_implIfNS1_5distsIfE3oneEEEvPT_PKS6_S9_S9_S9_S6_lllllll.has_recursion, 0
	.set _ZN2at6native12_GLOBAL__N_131cdist_backward_kernel_cuda_implIfNS1_5distsIfE3oneEEEvPT_PKS6_S9_S9_S9_S6_lllllll.has_indirect_call, 0
	.section	.AMDGPU.csdata,"",@progbits
; Kernel info:
; codeLenInByte = 2900
; TotalNumSgprs: 34
; NumVgprs: 22
; ScratchSize: 0
; MemoryBound: 0
; FloatMode: 240
; IeeeMode: 1
; LDSByteSize: 0 bytes/workgroup (compile time only)
; SGPRBlocks: 0
; VGPRBlocks: 2
; NumSGPRsForWavesPerEU: 34
; NumVGPRsForWavesPerEU: 22
; Occupancy: 16
; WaveLimiterHint : 0
; COMPUTE_PGM_RSRC2:SCRATCH_EN: 0
; COMPUTE_PGM_RSRC2:USER_SGPR: 2
; COMPUTE_PGM_RSRC2:TRAP_HANDLER: 0
; COMPUTE_PGM_RSRC2:TGID_X_EN: 1
; COMPUTE_PGM_RSRC2:TGID_Y_EN: 1
; COMPUTE_PGM_RSRC2:TGID_Z_EN: 1
; COMPUTE_PGM_RSRC2:TIDIG_COMP_CNT: 1
	.section	.text._ZN2at6native12_GLOBAL__N_131cdist_backward_kernel_cuda_implIfNS1_5distsIfE6lt_twoEEEvPT_PKS6_S9_S9_S9_S6_lllllll,"axG",@progbits,_ZN2at6native12_GLOBAL__N_131cdist_backward_kernel_cuda_implIfNS1_5distsIfE6lt_twoEEEvPT_PKS6_S9_S9_S9_S6_lllllll,comdat
	.globl	_ZN2at6native12_GLOBAL__N_131cdist_backward_kernel_cuda_implIfNS1_5distsIfE6lt_twoEEEvPT_PKS6_S9_S9_S9_S6_lllllll ; -- Begin function _ZN2at6native12_GLOBAL__N_131cdist_backward_kernel_cuda_implIfNS1_5distsIfE6lt_twoEEEvPT_PKS6_S9_S9_S9_S6_lllllll
	.p2align	8
	.type	_ZN2at6native12_GLOBAL__N_131cdist_backward_kernel_cuda_implIfNS1_5distsIfE6lt_twoEEEvPT_PKS6_S9_S9_S9_S6_lllllll,@function
_ZN2at6native12_GLOBAL__N_131cdist_backward_kernel_cuda_implIfNS1_5distsIfE6lt_twoEEEvPT_PKS6_S9_S9_S9_S6_lllllll: ; @_ZN2at6native12_GLOBAL__N_131cdist_backward_kernel_cuda_implIfNS1_5distsIfE6lt_twoEEEvPT_PKS6_S9_S9_S9_S6_lllllll
; %bb.0:
	s_clause 0x1
	s_load_b64 s[2:3], s[0:1], 0x70
	s_load_b256 s[4:11], s[0:1], 0x30
	s_and_b32 s12, ttmp7, 0xffff
	v_bfe_u32 v1, v0, 10, 10
	s_lshr_b32 s13, ttmp7, 16
	s_wait_kmcnt 0x0
	s_mul_i32 s2, s2, s12
	s_lshr_b32 s12, s3, 16
	s_add_co_i32 s2, s2, s13
	s_delay_alu instid0(SALU_CYCLE_1) | instskip(SKIP_2) | instid1(VALU_DEP_1)
	v_mad_co_u64_u32 v[4:5], null, s2, s12, v[1:2]
	s_mov_b32 s2, exec_lo
	v_ashrrev_i32_e32 v5, 31, v4
	v_cmpx_gt_i64_e64 s[10:11], v[4:5]
	s_cbranch_execz .LBB37_14
; %bb.1:
	v_and_b32_e32 v0, 0x3ff, v0
	s_and_b32 s31, s3, 0xffff
	s_load_b256 s[12:19], s[0:1], 0x50
	s_delay_alu instid0(VALU_DEP_1) | instskip(NEXT) | instid1(VALU_DEP_1)
	v_mad_co_u64_u32 v[0:1], null, ttmp9, s31, v[0:1]
	v_ashrrev_i32_e32 v1, 31, v0
	s_delay_alu instid0(VALU_DEP_1)
	v_cmp_gt_i64_e32 vcc_lo, s[8:9], v[0:1]
	s_and_b32 exec_lo, exec_lo, vcc_lo
	s_cbranch_execz .LBB37_14
; %bb.2:
	s_wait_kmcnt 0x0
	v_or_b32_e32 v3, s13, v5
	v_mov_b32_e32 v2, 0
	s_delay_alu instid0(VALU_DEP_1)
	v_cmp_ne_u64_e32 vcc_lo, 0, v[2:3]
                                        ; implicit-def: $vgpr2_vgpr3
	s_and_saveexec_b32 s2, vcc_lo
	s_wait_alu 0xfffe
	s_xor_b32 s3, exec_lo, s2
	s_cbranch_execz .LBB37_4
; %bb.3:
	s_ashr_i32 s10, s13, 31
	s_mov_b32 s27, 0
	s_wait_alu 0xfffe
	s_mov_b32 s11, s10
	v_ashrrev_i32_e32 v10, 31, v5
	s_wait_alu 0xfffe
	s_add_nc_u64 s[18:19], s[12:13], s[10:11]
	s_delay_alu instid0(SALU_CYCLE_1) | instskip(NEXT) | instid1(VALU_DEP_1)
	s_xor_b64 s[18:19], s[18:19], s[10:11]
	v_add_co_u32 v2, vcc_lo, v4, v10
	s_cvt_f32_u32 s2, s18
	s_cvt_f32_u32 s11, s19
	s_sub_nc_u64 s[22:23], 0, s[18:19]
	v_add_co_ci_u32_e64 v3, null, v5, v10, vcc_lo
	s_wait_alu 0xfffe
	s_fmamk_f32 s2, s11, 0x4f800000, s2
	v_xor_b32_e32 v11, v2, v10
	s_delay_alu instid0(VALU_DEP_2) | instskip(SKIP_2) | instid1(TRANS32_DEP_1)
	v_xor_b32_e32 v12, v3, v10
	s_wait_alu 0xfffe
	v_s_rcp_f32 s2, s2
	s_mul_f32 s2, s2, 0x5f7ffffc
	s_wait_alu 0xfffe
	s_delay_alu instid0(SALU_CYCLE_2) | instskip(SKIP_1) | instid1(SALU_CYCLE_2)
	s_mul_f32 s11, s2, 0x2f800000
	s_wait_alu 0xfffe
	s_trunc_f32 s11, s11
	s_wait_alu 0xfffe
	s_delay_alu instid0(SALU_CYCLE_2) | instskip(SKIP_2) | instid1(SALU_CYCLE_1)
	s_fmamk_f32 s2, s11, 0xcf800000, s2
	s_cvt_u32_f32 s21, s11
	s_wait_alu 0xfffe
	s_cvt_u32_f32 s20, s2
	s_delay_alu instid0(SALU_CYCLE_3) | instskip(NEXT) | instid1(SALU_CYCLE_1)
	s_mul_u64 s[24:25], s[22:23], s[20:21]
	s_mul_hi_u32 s29, s20, s25
	s_mul_i32 s28, s20, s25
	s_mul_hi_u32 s26, s20, s24
	s_mul_i32 s11, s21, s24
	s_add_nc_u64 s[28:29], s[26:27], s[28:29]
	s_mul_hi_u32 s2, s21, s24
	s_mul_hi_u32 s30, s21, s25
	s_wait_alu 0xfffe
	s_add_co_u32 s11, s28, s11
	s_add_co_ci_u32 s26, s29, s2
	s_mul_i32 s24, s21, s25
	s_add_co_ci_u32 s25, s30, 0
	s_delay_alu instid0(SALU_CYCLE_1) | instskip(NEXT) | instid1(SALU_CYCLE_1)
	s_add_nc_u64 s[24:25], s[26:27], s[24:25]
	s_add_co_u32 s20, s20, s24
	s_cselect_b32 s2, -1, 0
	s_wait_alu 0xfffe
	s_cmp_lg_u32 s2, 0
	s_add_co_ci_u32 s21, s21, s25
	s_delay_alu instid0(SALU_CYCLE_1) | instskip(NEXT) | instid1(SALU_CYCLE_1)
	s_mul_u64 s[22:23], s[22:23], s[20:21]
	s_mul_hi_u32 s25, s20, s23
	s_mul_i32 s24, s20, s23
	s_mul_hi_u32 s26, s20, s22
	s_mul_i32 s11, s21, s22
	s_add_nc_u64 s[24:25], s[26:27], s[24:25]
	s_mul_hi_u32 s2, s21, s22
	s_mul_hi_u32 s28, s21, s23
	s_wait_alu 0xfffe
	s_add_co_u32 s11, s24, s11
	s_add_co_ci_u32 s26, s25, s2
	s_mul_i32 s22, s21, s23
	s_add_co_ci_u32 s23, s28, 0
	s_delay_alu instid0(SALU_CYCLE_1) | instskip(NEXT) | instid1(SALU_CYCLE_1)
	s_add_nc_u64 s[22:23], s[26:27], s[22:23]
	s_add_co_u32 s2, s20, s22
	s_cselect_b32 s11, -1, 0
	s_wait_alu 0xfffe
	v_mul_hi_u32 v13, v11, s2
	s_cmp_lg_u32 s11, 0
	v_mad_co_u64_u32 v[6:7], null, v12, s2, 0
	s_add_co_ci_u32 s11, s21, s23
	s_wait_alu 0xfffe
	v_mad_co_u64_u32 v[2:3], null, v11, s11, 0
	v_mad_co_u64_u32 v[8:9], null, v12, s11, 0
	s_delay_alu instid0(VALU_DEP_2) | instskip(SKIP_1) | instid1(VALU_DEP_3)
	v_add_co_u32 v2, vcc_lo, v13, v2
	s_wait_alu 0xfffd
	v_add_co_ci_u32_e64 v3, null, 0, v3, vcc_lo
	s_delay_alu instid0(VALU_DEP_2) | instskip(SKIP_1) | instid1(VALU_DEP_2)
	v_add_co_u32 v2, vcc_lo, v2, v6
	s_wait_alu 0xfffd
	v_add_co_ci_u32_e32 v2, vcc_lo, v3, v7, vcc_lo
	s_wait_alu 0xfffd
	v_add_co_ci_u32_e32 v3, vcc_lo, 0, v9, vcc_lo
	s_delay_alu instid0(VALU_DEP_2) | instskip(SKIP_1) | instid1(VALU_DEP_2)
	v_add_co_u32 v6, vcc_lo, v2, v8
	s_wait_alu 0xfffd
	v_add_co_ci_u32_e64 v7, null, 0, v3, vcc_lo
	s_delay_alu instid0(VALU_DEP_2) | instskip(SKIP_1) | instid1(VALU_DEP_3)
	v_mul_lo_u32 v8, s19, v6
	v_mad_co_u64_u32 v[2:3], null, s18, v6, 0
	v_mul_lo_u32 v9, s18, v7
	s_delay_alu instid0(VALU_DEP_2) | instskip(NEXT) | instid1(VALU_DEP_2)
	v_sub_co_u32 v2, vcc_lo, v11, v2
	v_add3_u32 v3, v3, v9, v8
	v_add_co_u32 v9, s2, v6, 2
	s_wait_alu 0xf1ff
	v_add_co_ci_u32_e64 v11, null, 0, v7, s2
	s_delay_alu instid0(VALU_DEP_3) | instskip(SKIP_3) | instid1(VALU_DEP_3)
	v_sub_nc_u32_e32 v8, v12, v3
	v_sub_co_u32 v13, s2, v2, s18
	s_wait_alu 0xfffd
	v_sub_co_ci_u32_e64 v3, null, v12, v3, vcc_lo
	v_subrev_co_ci_u32_e64 v8, null, s19, v8, vcc_lo
	s_delay_alu instid0(VALU_DEP_3) | instskip(SKIP_1) | instid1(VALU_DEP_2)
	v_cmp_le_u32_e32 vcc_lo, s18, v13
	s_wait_alu 0xf1ff
	v_subrev_co_ci_u32_e64 v8, null, 0, v8, s2
	s_wait_alu 0xfffd
	v_cndmask_b32_e64 v12, 0, -1, vcc_lo
	s_delay_alu instid0(VALU_DEP_2)
	v_cmp_le_u32_e32 vcc_lo, s19, v8
	s_wait_alu 0xfffd
	v_cndmask_b32_e64 v13, 0, -1, vcc_lo
	v_cmp_le_u32_e32 vcc_lo, s18, v2
	s_wait_alu 0xfffd
	v_cndmask_b32_e64 v2, 0, -1, vcc_lo
	;; [unrolled: 3-line block ×3, first 2 shown]
	v_cmp_eq_u32_e32 vcc_lo, s19, v8
	s_wait_alu 0xfffd
	v_cndmask_b32_e32 v8, v13, v12, vcc_lo
	v_add_co_u32 v12, vcc_lo, v6, 1
	s_wait_alu 0xfffd
	v_add_co_ci_u32_e64 v13, null, 0, v7, vcc_lo
	v_cmp_eq_u32_e32 vcc_lo, s19, v3
	s_wait_alu 0xfffd
	v_cndmask_b32_e32 v2, v14, v2, vcc_lo
	v_cmp_ne_u32_e32 vcc_lo, 0, v8
	v_xor_b32_e32 v8, s10, v10
	s_wait_alu 0xfffd
	v_cndmask_b32_e32 v3, v13, v11, vcc_lo
	v_cmp_ne_u32_e64 s2, 0, v2
	v_cndmask_b32_e32 v2, v12, v9, vcc_lo
	s_wait_alu 0xf1ff
	s_delay_alu instid0(VALU_DEP_2) | instskip(NEXT) | instid1(VALU_DEP_2)
	v_cndmask_b32_e64 v3, v7, v3, s2
	v_cndmask_b32_e64 v2, v6, v2, s2
	s_delay_alu instid0(VALU_DEP_2) | instskip(NEXT) | instid1(VALU_DEP_2)
	v_xor_b32_e32 v3, v3, v8
	v_xor_b32_e32 v2, v2, v8
	s_delay_alu instid0(VALU_DEP_1) | instskip(SKIP_1) | instid1(VALU_DEP_3)
	v_sub_co_u32 v2, vcc_lo, v2, v8
	s_wait_alu 0xfffd
	v_sub_co_ci_u32_e64 v3, null, v3, v8, vcc_lo
.LBB37_4:
	s_wait_alu 0xfffe
	s_and_not1_saveexec_b32 s2, s3
	s_cbranch_execz .LBB37_6
; %bb.5:
	v_cvt_f32_u32_e32 v2, s12
	s_sub_co_i32 s3, 0, s12
	s_delay_alu instid0(VALU_DEP_1) | instskip(NEXT) | instid1(TRANS32_DEP_1)
	v_rcp_iflag_f32_e32 v2, v2
	v_mul_f32_e32 v2, 0x4f7ffffe, v2
	s_delay_alu instid0(VALU_DEP_1) | instskip(SKIP_1) | instid1(VALU_DEP_1)
	v_cvt_u32_f32_e32 v2, v2
	s_wait_alu 0xfffe
	v_mul_lo_u32 v3, s3, v2
	s_delay_alu instid0(VALU_DEP_1) | instskip(NEXT) | instid1(VALU_DEP_1)
	v_mul_hi_u32 v3, v2, v3
	v_add_nc_u32_e32 v2, v2, v3
	s_delay_alu instid0(VALU_DEP_1) | instskip(NEXT) | instid1(VALU_DEP_1)
	v_mul_hi_u32 v2, v4, v2
	v_mul_lo_u32 v3, v2, s12
	v_add_nc_u32_e32 v6, 1, v2
	s_delay_alu instid0(VALU_DEP_2) | instskip(NEXT) | instid1(VALU_DEP_1)
	v_sub_nc_u32_e32 v3, v4, v3
	v_subrev_nc_u32_e32 v7, s12, v3
	v_cmp_le_u32_e32 vcc_lo, s12, v3
	s_wait_alu 0xfffd
	s_delay_alu instid0(VALU_DEP_2) | instskip(NEXT) | instid1(VALU_DEP_1)
	v_dual_cndmask_b32 v3, v3, v7 :: v_dual_cndmask_b32 v2, v2, v6
	v_cmp_le_u32_e32 vcc_lo, s12, v3
	s_delay_alu instid0(VALU_DEP_2) | instskip(SKIP_1) | instid1(VALU_DEP_1)
	v_dual_mov_b32 v3, 0 :: v_dual_add_nc_u32 v6, 1, v2
	s_wait_alu 0xfffd
	v_cndmask_b32_e32 v2, v2, v6, vcc_lo
.LBB37_6:
	s_wait_alu 0xfffe
	s_or_b32 exec_lo, exec_lo, s2
	v_mul_lo_u32 v3, v3, s12
	s_delay_alu instid0(VALU_DEP_2)
	v_mul_lo_u32 v8, v2, s13
	v_mad_co_u64_u32 v[6:7], null, v2, s12, 0
	s_add_nc_u64 s[10:11], s[0:1], 0x68
	v_add3_u32 v3, v7, v8, v3
	v_sub_co_u32 v10, vcc_lo, v4, v6
	v_mov_b32_e32 v7, 0
	s_wait_alu 0xfffd
	s_delay_alu instid0(VALU_DEP_3) | instskip(NEXT) | instid1(VALU_DEP_1)
	v_sub_co_ci_u32_e64 v3, null, v5, v3, vcc_lo
	v_or_b32_e32 v8, s7, v3
	s_delay_alu instid0(VALU_DEP_1)
	v_cmp_ne_u64_e32 vcc_lo, 0, v[7:8]
                                        ; implicit-def: $vgpr7_vgpr8
	s_and_saveexec_b32 s2, vcc_lo
	s_wait_alu 0xfffe
	s_xor_b32 s3, exec_lo, s2
	s_cbranch_execz .LBB37_8
; %bb.7:
	s_ashr_i32 s12, s7, 31
	s_mov_b32 s27, 0
	s_wait_alu 0xfffe
	s_mov_b32 s13, s12
	v_ashrrev_i32_e32 v9, 31, v3
	s_wait_alu 0xfffe
	s_add_nc_u64 s[18:19], s[6:7], s[12:13]
	s_wait_alu 0xfffe
	s_xor_b64 s[18:19], s[18:19], s[12:13]
	v_add_co_u32 v7, vcc_lo, v10, v9
	s_wait_alu 0xfffe
	s_cvt_f32_u32 s2, s18
	s_cvt_f32_u32 s13, s19
	s_sub_nc_u64 s[22:23], 0, s[18:19]
	s_wait_alu 0xfffd
	v_add_co_ci_u32_e64 v8, null, v3, v9, vcc_lo
	s_wait_alu 0xfffe
	s_fmamk_f32 s2, s13, 0x4f800000, s2
	v_xor_b32_e32 v15, v7, v9
	s_delay_alu instid0(VALU_DEP_2) | instskip(SKIP_3) | instid1(TRANS32_DEP_1)
	v_xor_b32_e32 v16, v8, v9
	s_wait_alu 0xfffe
	v_s_rcp_f32 s2, s2
	v_xor_b32_e32 v9, s12, v9
	s_mul_f32 s2, s2, 0x5f7ffffc
	s_wait_alu 0xfffe
	s_delay_alu instid0(SALU_CYCLE_2) | instskip(SKIP_1) | instid1(SALU_CYCLE_2)
	s_mul_f32 s13, s2, 0x2f800000
	s_wait_alu 0xfffe
	s_trunc_f32 s13, s13
	s_wait_alu 0xfffe
	s_delay_alu instid0(SALU_CYCLE_2) | instskip(SKIP_2) | instid1(SALU_CYCLE_1)
	s_fmamk_f32 s2, s13, 0xcf800000, s2
	s_cvt_u32_f32 s21, s13
	s_wait_alu 0xfffe
	s_cvt_u32_f32 s20, s2
	s_delay_alu instid0(SALU_CYCLE_3) | instskip(NEXT) | instid1(SALU_CYCLE_1)
	s_mul_u64 s[24:25], s[22:23], s[20:21]
	s_mul_hi_u32 s29, s20, s25
	s_mul_i32 s28, s20, s25
	s_mul_hi_u32 s26, s20, s24
	s_mul_i32 s13, s21, s24
	s_add_nc_u64 s[28:29], s[26:27], s[28:29]
	s_mul_hi_u32 s2, s21, s24
	s_mul_hi_u32 s30, s21, s25
	s_wait_alu 0xfffe
	s_add_co_u32 s13, s28, s13
	s_add_co_ci_u32 s26, s29, s2
	s_mul_i32 s24, s21, s25
	s_add_co_ci_u32 s25, s30, 0
	s_delay_alu instid0(SALU_CYCLE_1) | instskip(NEXT) | instid1(SALU_CYCLE_1)
	s_add_nc_u64 s[24:25], s[26:27], s[24:25]
	s_add_co_u32 s20, s20, s24
	s_cselect_b32 s2, -1, 0
	s_wait_alu 0xfffe
	s_cmp_lg_u32 s2, 0
	s_add_co_ci_u32 s21, s21, s25
	s_delay_alu instid0(SALU_CYCLE_1) | instskip(NEXT) | instid1(SALU_CYCLE_1)
	s_mul_u64 s[22:23], s[22:23], s[20:21]
	s_mul_hi_u32 s25, s20, s23
	s_mul_i32 s24, s20, s23
	s_mul_hi_u32 s26, s20, s22
	s_mul_i32 s13, s21, s22
	s_add_nc_u64 s[24:25], s[26:27], s[24:25]
	s_mul_hi_u32 s2, s21, s22
	s_mul_hi_u32 s28, s21, s23
	s_wait_alu 0xfffe
	s_add_co_u32 s13, s24, s13
	s_add_co_ci_u32 s26, s25, s2
	s_mul_i32 s22, s21, s23
	s_add_co_ci_u32 s23, s28, 0
	s_delay_alu instid0(SALU_CYCLE_1) | instskip(NEXT) | instid1(SALU_CYCLE_1)
	s_add_nc_u64 s[22:23], s[26:27], s[22:23]
	s_add_co_u32 s2, s20, s22
	s_cselect_b32 s13, -1, 0
	s_wait_alu 0xfffe
	v_mul_hi_u32 v17, v15, s2
	s_cmp_lg_u32 s13, 0
	v_mad_co_u64_u32 v[11:12], null, v16, s2, 0
	s_add_co_ci_u32 s13, s21, s23
	s_wait_alu 0xfffe
	v_mad_co_u64_u32 v[7:8], null, v15, s13, 0
	v_mad_co_u64_u32 v[13:14], null, v16, s13, 0
	s_delay_alu instid0(VALU_DEP_2) | instskip(SKIP_1) | instid1(VALU_DEP_3)
	v_add_co_u32 v7, vcc_lo, v17, v7
	s_wait_alu 0xfffd
	v_add_co_ci_u32_e64 v8, null, 0, v8, vcc_lo
	s_delay_alu instid0(VALU_DEP_2) | instskip(SKIP_1) | instid1(VALU_DEP_2)
	v_add_co_u32 v7, vcc_lo, v7, v11
	s_wait_alu 0xfffd
	v_add_co_ci_u32_e32 v7, vcc_lo, v8, v12, vcc_lo
	s_wait_alu 0xfffd
	v_add_co_ci_u32_e32 v8, vcc_lo, 0, v14, vcc_lo
	s_delay_alu instid0(VALU_DEP_2) | instskip(SKIP_1) | instid1(VALU_DEP_2)
	v_add_co_u32 v11, vcc_lo, v7, v13
	s_wait_alu 0xfffd
	v_add_co_ci_u32_e64 v12, null, 0, v8, vcc_lo
	s_delay_alu instid0(VALU_DEP_2) | instskip(SKIP_1) | instid1(VALU_DEP_3)
	v_mul_lo_u32 v13, s19, v11
	v_mad_co_u64_u32 v[7:8], null, s18, v11, 0
	v_mul_lo_u32 v14, s18, v12
	s_delay_alu instid0(VALU_DEP_2) | instskip(NEXT) | instid1(VALU_DEP_2)
	v_sub_co_u32 v7, vcc_lo, v15, v7
	v_add3_u32 v8, v8, v14, v13
	v_add_co_u32 v14, s2, v11, 2
	s_wait_alu 0xf1ff
	v_add_co_ci_u32_e64 v15, null, 0, v12, s2
	s_delay_alu instid0(VALU_DEP_3) | instskip(SKIP_3) | instid1(VALU_DEP_3)
	v_sub_nc_u32_e32 v13, v16, v8
	v_sub_co_u32 v17, s2, v7, s18
	s_wait_alu 0xfffd
	v_sub_co_ci_u32_e64 v8, null, v16, v8, vcc_lo
	v_subrev_co_ci_u32_e64 v13, null, s19, v13, vcc_lo
	s_delay_alu instid0(VALU_DEP_3) | instskip(SKIP_1) | instid1(VALU_DEP_2)
	v_cmp_le_u32_e32 vcc_lo, s18, v17
	s_wait_alu 0xf1ff
	v_subrev_co_ci_u32_e64 v13, null, 0, v13, s2
	s_wait_alu 0xfffd
	v_cndmask_b32_e64 v16, 0, -1, vcc_lo
	s_delay_alu instid0(VALU_DEP_2)
	v_cmp_le_u32_e32 vcc_lo, s19, v13
	s_wait_alu 0xfffd
	v_cndmask_b32_e64 v17, 0, -1, vcc_lo
	v_cmp_le_u32_e32 vcc_lo, s18, v7
	s_wait_alu 0xfffd
	v_cndmask_b32_e64 v7, 0, -1, vcc_lo
	;; [unrolled: 3-line block ×3, first 2 shown]
	v_cmp_eq_u32_e32 vcc_lo, s19, v13
	s_wait_alu 0xfffd
	v_cndmask_b32_e32 v13, v17, v16, vcc_lo
	v_add_co_u32 v16, vcc_lo, v11, 1
	s_wait_alu 0xfffd
	v_add_co_ci_u32_e64 v17, null, 0, v12, vcc_lo
	v_cmp_eq_u32_e32 vcc_lo, s19, v8
	s_wait_alu 0xfffd
	v_cndmask_b32_e32 v7, v18, v7, vcc_lo
	v_cmp_ne_u32_e32 vcc_lo, 0, v13
	s_delay_alu instid0(VALU_DEP_2) | instskip(SKIP_3) | instid1(VALU_DEP_1)
	v_cmp_ne_u32_e64 s2, 0, v7
	s_wait_alu 0xfffd
	v_dual_cndmask_b32 v8, v17, v15 :: v_dual_cndmask_b32 v7, v16, v14
	s_wait_alu 0xf1ff
	v_cndmask_b32_e64 v8, v12, v8, s2
	s_delay_alu instid0(VALU_DEP_2) | instskip(NEXT) | instid1(VALU_DEP_2)
	v_cndmask_b32_e64 v7, v11, v7, s2
	v_xor_b32_e32 v8, v8, v9
	s_delay_alu instid0(VALU_DEP_2) | instskip(NEXT) | instid1(VALU_DEP_1)
	v_xor_b32_e32 v7, v7, v9
	v_sub_co_u32 v7, vcc_lo, v7, v9
	s_wait_alu 0xfffd
	s_delay_alu instid0(VALU_DEP_3)
	v_sub_co_ci_u32_e64 v8, null, v8, v9, vcc_lo
.LBB37_8:
	s_wait_alu 0xfffe
	s_or_saveexec_b32 s2, s3
	s_load_b32 s12, s[10:11], 0x0
	s_xor_b32 exec_lo, exec_lo, s2
	s_cbranch_execz .LBB37_10
; %bb.9:
	v_cvt_f32_u32_e32 v7, s6
	s_sub_co_i32 s3, 0, s6
	s_delay_alu instid0(VALU_DEP_1) | instskip(NEXT) | instid1(TRANS32_DEP_1)
	v_rcp_iflag_f32_e32 v7, v7
	v_mul_f32_e32 v7, 0x4f7ffffe, v7
	s_delay_alu instid0(VALU_DEP_1) | instskip(SKIP_1) | instid1(VALU_DEP_1)
	v_cvt_u32_f32_e32 v7, v7
	s_wait_alu 0xfffe
	v_mul_lo_u32 v8, s3, v7
	s_delay_alu instid0(VALU_DEP_1) | instskip(NEXT) | instid1(VALU_DEP_1)
	v_mul_hi_u32 v8, v7, v8
	v_add_nc_u32_e32 v7, v7, v8
	s_delay_alu instid0(VALU_DEP_1) | instskip(NEXT) | instid1(VALU_DEP_1)
	v_mul_hi_u32 v7, v10, v7
	v_mul_lo_u32 v8, v7, s6
	v_add_nc_u32_e32 v9, 1, v7
	s_delay_alu instid0(VALU_DEP_2) | instskip(NEXT) | instid1(VALU_DEP_1)
	v_sub_nc_u32_e32 v8, v10, v8
	v_subrev_nc_u32_e32 v11, s6, v8
	v_cmp_le_u32_e32 vcc_lo, s6, v8
	s_wait_alu 0xfffd
	s_delay_alu instid0(VALU_DEP_2) | instskip(NEXT) | instid1(VALU_DEP_1)
	v_dual_cndmask_b32 v8, v8, v11 :: v_dual_cndmask_b32 v7, v7, v9
	v_cmp_le_u32_e32 vcc_lo, s6, v8
	s_delay_alu instid0(VALU_DEP_2) | instskip(SKIP_1) | instid1(VALU_DEP_1)
	v_dual_mov_b32 v8, 0 :: v_dual_add_nc_u32 v9, 1, v7
	s_wait_alu 0xfffd
	v_cndmask_b32_e32 v7, v7, v9, vcc_lo
.LBB37_10:
	s_or_b32 exec_lo, exec_lo, s2
	s_load_b96 s[28:30], s[0:1], 0x20
	v_lshlrev_b64_e32 v[4:5], 2, v[4:5]
	s_mov_b32 s11, 0x3e76c4e1
	s_load_b256 s[20:27], s[0:1], 0x0
	v_mul_lo_u32 v24, v8, s8
	v_mul_lo_u32 v25, v7, s9
	;; [unrolled: 1-line block ×5, first 2 shown]
	s_lshl_b64 s[2:3], s[8:9], 2
	v_lshlrev_b64_e32 v[0:1], 2, v[0:1]
	s_wait_kmcnt 0x0
	v_add_co_u32 v11, vcc_lo, s28, v4
	s_wait_alu 0xfffd
	v_add_co_ci_u32_e64 v12, null, s29, v5, vcc_lo
	s_add_f32 s10, s30, -1.0
	v_add_co_u32 v4, s0, s22, v4
	global_load_b32 v19, v[11:12], off
	s_wait_alu 0xf1ff
	v_add_co_ci_u32_e64 v5, null, s23, v5, s0
	s_cmp_lt_f32 s30, 1.0
	s_wait_loadcnt 0x0
	v_cmp_neq_f32_e32 vcc_lo, 1.0, v19
	s_wait_alu 0xfffc
	v_cndmask_b32_e64 v20, 1.0, s10, vcc_lo
	s_delay_alu instid0(VALU_DEP_1) | instskip(SKIP_2) | instid1(VALU_DEP_1)
	v_cmp_neq_f32_e32 vcc_lo, 0, v20
	s_wait_alu 0xfffd
	v_cndmask_b32_e32 v21, 1.0, v19, vcc_lo
	v_frexp_mant_f32_e64 v9, |v21|
	s_delay_alu instid0(VALU_DEP_1) | instskip(SKIP_2) | instid1(VALU_DEP_1)
	v_cmp_gt_f32_e32 vcc_lo, 0x3f2aaaab, v9
	s_wait_alu 0xfffd
	v_cndmask_b32_e64 v11, 1.0, 2.0, vcc_lo
	v_mul_f32_e32 v9, v9, v11
	s_delay_alu instid0(VALU_DEP_1) | instskip(SKIP_1) | instid1(VALU_DEP_2)
	v_add_f32_e32 v11, 1.0, v9
	v_add_f32_e32 v13, -1.0, v9
	v_rcp_f32_e32 v12, v11
	s_delay_alu instid0(TRANS32_DEP_1) | instskip(NEXT) | instid1(VALU_DEP_1)
	v_dual_add_f32 v15, -1.0, v11 :: v_dual_mul_f32 v14, v13, v12
	v_dual_mul_f32 v16, v11, v14 :: v_dual_sub_f32 v9, v9, v15
	s_delay_alu instid0(VALU_DEP_1) | instskip(NEXT) | instid1(VALU_DEP_1)
	v_fma_f32 v11, v14, v11, -v16
	v_fmac_f32_e32 v11, v14, v9
	s_delay_alu instid0(VALU_DEP_1) | instskip(NEXT) | instid1(VALU_DEP_1)
	v_add_f32_e32 v9, v16, v11
	v_sub_f32_e32 v15, v13, v9
	v_sub_f32_e32 v16, v9, v16
	s_delay_alu instid0(VALU_DEP_2) | instskip(NEXT) | instid1(VALU_DEP_2)
	v_sub_f32_e32 v13, v13, v15
	v_sub_f32_e32 v11, v16, v11
	s_delay_alu instid0(VALU_DEP_2) | instskip(NEXT) | instid1(VALU_DEP_1)
	v_sub_f32_e32 v9, v13, v9
	v_add_f32_e32 v9, v11, v9
	s_delay_alu instid0(VALU_DEP_1) | instskip(NEXT) | instid1(VALU_DEP_1)
	v_add_f32_e32 v9, v15, v9
	v_mul_f32_e32 v11, v12, v9
	global_load_b32 v9, v[4:5], off
	v_add_f32_e32 v12, v14, v11
	s_delay_alu instid0(VALU_DEP_1) | instskip(NEXT) | instid1(VALU_DEP_1)
	v_sub_f32_e32 v13, v12, v14
	v_dual_mul_f32 v14, v12, v12 :: v_dual_sub_f32 v11, v11, v13
	s_delay_alu instid0(VALU_DEP_1) | instskip(NEXT) | instid1(VALU_DEP_2)
	v_fma_f32 v13, v12, v12, -v14
	v_add_f32_e32 v4, v11, v11
	s_delay_alu instid0(VALU_DEP_1) | instskip(SKIP_1) | instid1(VALU_DEP_2)
	v_fmac_f32_e32 v13, v12, v4
	v_cvt_f64_f32_e64 v[4:5], |v21|
	v_add_f32_e32 v15, v14, v13
	s_delay_alu instid0(VALU_DEP_1) | instskip(SKIP_2) | instid1(VALU_DEP_2)
	v_fmaak_f32 v16, s11, v15, 0x3e91f4c4
	v_sub_f32_e32 v14, v15, v14
	v_mul_f32_e32 v22, v12, v15
	v_dual_fmaak_f32 v16, v15, v16, 0x3ecccdef :: v_dual_sub_f32 v13, v13, v14
	s_delay_alu instid0(VALU_DEP_1) | instskip(NEXT) | instid1(VALU_DEP_1)
	v_mul_f32_e32 v17, v15, v16
	v_fma_f32 v14, v15, v16, -v17
	s_delay_alu instid0(VALU_DEP_1) | instskip(NEXT) | instid1(VALU_DEP_1)
	v_fmac_f32_e32 v14, v13, v16
	v_add_f32_e32 v16, v17, v14
	v_frexp_exp_i32_f64_e32 v4, v[4:5]
	s_delay_alu instid0(VALU_DEP_2) | instskip(NEXT) | instid1(VALU_DEP_2)
	v_add_f32_e32 v18, 0x3f2aaaaa, v16
	v_subrev_co_ci_u32_e64 v4, null, 0, v4, vcc_lo
	s_delay_alu instid0(VALU_DEP_1) | instskip(SKIP_1) | instid1(VALU_DEP_1)
	v_cvt_f32_i32_e32 v4, v4
	v_sub_f32_e32 v17, v16, v17
	v_dual_sub_f32 v5, v14, v17 :: v_dual_add_f32 v14, 0xbf2aaaaa, v18
	v_fma_f32 v17, v15, v12, -v22
	s_delay_alu instid0(VALU_DEP_2) | instskip(NEXT) | instid1(VALU_DEP_2)
	v_dual_add_f32 v5, 0x31739010, v5 :: v_dual_sub_f32 v14, v16, v14
	v_fmac_f32_e32 v17, v15, v11
	v_ldexp_f32 v11, v11, 1
	s_delay_alu instid0(VALU_DEP_3) | instskip(NEXT) | instid1(VALU_DEP_3)
	v_add_f32_e32 v5, v5, v14
	v_fmac_f32_e32 v17, v13, v12
	s_delay_alu instid0(VALU_DEP_2) | instskip(NEXT) | instid1(VALU_DEP_2)
	v_add_f32_e32 v13, v18, v5
	v_add_f32_e32 v14, v22, v17
	s_delay_alu instid0(VALU_DEP_2) | instskip(NEXT) | instid1(VALU_DEP_2)
	v_sub_f32_e32 v15, v18, v13
	v_mul_f32_e32 v16, v14, v13
	v_sub_f32_e32 v18, v14, v22
	v_ashrrev_i32_e32 v22, 31, v2
	s_delay_alu instid0(VALU_DEP_4) | instskip(NEXT) | instid1(VALU_DEP_4)
	v_add_f32_e32 v5, v5, v15
	v_fma_f32 v15, v14, v13, -v16
	s_delay_alu instid0(VALU_DEP_4) | instskip(NEXT) | instid1(VALU_DEP_2)
	v_sub_f32_e32 v17, v17, v18
	v_fmac_f32_e32 v15, v14, v5
	v_ldexp_f32 v5, v12, 1
	s_delay_alu instid0(VALU_DEP_2) | instskip(NEXT) | instid1(VALU_DEP_1)
	v_fmac_f32_e32 v15, v17, v13
	v_add_f32_e32 v12, v16, v15
	s_delay_alu instid0(VALU_DEP_1) | instskip(SKIP_1) | instid1(VALU_DEP_2)
	v_add_f32_e32 v13, v5, v12
	v_sub_f32_e32 v14, v12, v16
	v_dual_mul_f32 v16, 0x3f317218, v4 :: v_dual_sub_f32 v5, v13, v5
	s_delay_alu instid0(VALU_DEP_2) | instskip(NEXT) | instid1(VALU_DEP_2)
	v_sub_f32_e32 v14, v15, v14
	v_fma_f32 v15, 0x3f317218, v4, -v16
	s_delay_alu instid0(VALU_DEP_3) | instskip(NEXT) | instid1(VALU_DEP_3)
	v_sub_f32_e32 v5, v12, v5
	v_add_f32_e32 v11, v11, v14
	s_delay_alu instid0(VALU_DEP_1) | instskip(NEXT) | instid1(VALU_DEP_1)
	v_dual_fmac_f32 v15, 0xb102e308, v4 :: v_dual_add_f32 v4, v11, v5
	v_add_f32_e32 v5, v16, v15
	s_delay_alu instid0(VALU_DEP_2) | instskip(NEXT) | instid1(VALU_DEP_2)
	v_add_f32_e32 v11, v13, v4
	v_sub_f32_e32 v16, v5, v16
	s_delay_alu instid0(VALU_DEP_2) | instskip(NEXT) | instid1(VALU_DEP_1)
	v_dual_add_f32 v12, v5, v11 :: v_dual_sub_f32 v13, v11, v13
	v_dual_sub_f32 v15, v15, v16 :: v_dual_sub_f32 v14, v12, v5
	s_delay_alu instid0(VALU_DEP_2) | instskip(NEXT) | instid1(VALU_DEP_2)
	v_sub_f32_e32 v4, v4, v13
	v_sub_f32_e32 v17, v12, v14
	;; [unrolled: 1-line block ×3, first 2 shown]
	s_delay_alu instid0(VALU_DEP_3) | instskip(SKIP_3) | instid1(VALU_DEP_1)
	v_add_f32_e32 v13, v15, v4
	v_mul_lo_u32 v14, s8, v6
	v_mul_lo_u32 v6, v8, s6
	v_sub_f32_e32 v5, v5, v17
	v_add_f32_e32 v5, v11, v5
	v_sub_f32_e32 v11, v13, v15
	s_delay_alu instid0(VALU_DEP_2) | instskip(NEXT) | instid1(VALU_DEP_2)
	v_add_f32_e32 v5, v13, v5
	v_sub_f32_e32 v13, v13, v11
	v_sub_f32_e32 v4, v4, v11
	s_delay_alu instid0(VALU_DEP_3) | instskip(NEXT) | instid1(VALU_DEP_3)
	v_add_f32_e32 v16, v12, v5
	v_sub_f32_e32 v11, v15, v13
	s_delay_alu instid0(VALU_DEP_2) | instskip(NEXT) | instid1(VALU_DEP_2)
	v_dual_mov_b32 v13, 0 :: v_dual_sub_f32 v12, v16, v12
	v_add_f32_e32 v11, v4, v11
	s_delay_alu instid0(VALU_DEP_2) | instskip(NEXT) | instid1(VALU_DEP_3)
	v_ashrrev_i64 v[13:14], 30, v[13:14]
	v_sub_f32_e32 v12, v5, v12
	v_mad_co_u64_u32 v[4:5], null, v2, s14, 0
	s_delay_alu instid0(VALU_DEP_2) | instskip(SKIP_1) | instid1(VALU_DEP_2)
	v_add_f32_e32 v17, v11, v12
	v_mad_co_u64_u32 v[11:12], null, v7, s8, 0
	v_add_f32_e32 v18, v16, v17
	s_delay_alu instid0(VALU_DEP_2) | instskip(NEXT) | instid1(VALU_DEP_2)
	v_add3_u32 v12, v12, v25, v24
	v_dual_sub_f32 v26, v18, v16 :: v_dual_mul_f32 v27, v20, v18
	v_mad_co_u64_u32 v[15:16], null, v7, s6, 0
	s_cselect_b32 s6, -1, 0
	v_sub_f32_e32 v26, v17, v26
	v_fma_f32 v29, v20, v18, -v27
	v_mad_co_u64_u32 v[17:18], null, v2, s16, 0
	v_mul_lo_u32 v2, v22, s14
	v_cmp_class_f32_e64 s0, v27, 0x204
	s_delay_alu instid0(VALU_DEP_4) | instskip(SKIP_3) | instid1(VALU_DEP_4)
	v_fmac_f32_e32 v29, v20, v26
	v_add3_u32 v6, v16, v28, v6
	v_sub_co_u32 v15, vcc_lo, v10, v15
	v_lshlrev_b64_e32 v[10:11], 2, v[11:12]
	v_add_f32_e32 v24, v27, v29
	v_add3_u32 v5, v5, v23, v2
	s_wait_alu 0xfffd
	v_sub_co_ci_u32_e64 v12, null, v3, v6, vcc_lo
	v_mul_lo_u32 v22, v22, s16
	s_wait_alu 0xf1ff
	v_cndmask_b32_e64 v23, v24, v27, s0
	v_mad_co_u64_u32 v[2:3], null, v15, s4, v[7:8]
	v_mul_lo_u32 v28, v12, s4
	v_lshlrev_b64_e32 v[4:5], 2, v[4:5]
	s_delay_alu instid0(VALU_DEP_4)
	v_cmp_eq_f32_e32 vcc_lo, 0x42b17218, v23
	v_mul_lo_u32 v25, v15, s5
	v_add3_u32 v18, v18, v30, v22
	v_mul_lo_u32 v22, v15, s9
	v_mul_lo_u32 v33, v2, s9
	s_wait_alu 0xfffd
	v_cndmask_b32_e64 v8, 0, 0x37000000, vcc_lo
	v_add_co_u32 v30, vcc_lo, s20, v13
	v_lshlrev_b64_e32 v[6:7], 2, v[17:18]
	s_wait_alu 0xfffd
	v_add_co_ci_u32_e64 v31, null, s21, v14, vcc_lo
	v_sub_f32_e32 v26, v23, v8
	v_mul_lo_u32 v17, v12, s8
	v_mad_co_u64_u32 v[12:13], null, v2, s8, 0
	v_mad_co_u64_u32 v[15:16], null, v15, s8, 0
	s_delay_alu instid0(VALU_DEP_4) | instskip(SKIP_3) | instid1(VALU_DEP_3)
	v_mul_f32_e32 v18, 0x3fb8aa3b, v26
	v_add_co_u32 v4, vcc_lo, s24, v4
	s_wait_alu 0xfffd
	v_add_co_ci_u32_e64 v5, null, s25, v5, vcc_lo
	v_fma_f32 v14, 0x3fb8aa3b, v26, -v18
	v_rndne_f32_e32 v32, v18
	v_add3_u32 v16, v16, v22, v17
	v_add3_u32 v3, v28, v3, v25
	v_cmp_neq_f32_e64 s4, v20, |v20|
	v_fmac_f32_e32 v14, 0x32a5705f, v26
	v_sub_f32_e32 v2, v18, v32
	v_add_co_u32 v18, vcc_lo, s26, v6
	s_wait_alu 0xfffd
	v_add_co_ci_u32_e64 v34, null, s27, v7, vcc_lo
	s_delay_alu instid0(VALU_DEP_3) | instskip(SKIP_3) | instid1(VALU_DEP_4)
	v_add_f32_e32 v2, v2, v14
	v_sub_f32_e32 v14, v24, v27
	v_add_co_u32 v6, vcc_lo, v4, v10
	v_cvt_i32_f32_e32 v17, v32
	v_exp_f32_e32 v2, v2
	s_wait_alu 0xfffd
	v_add_co_ci_u32_e64 v7, null, v5, v11, vcc_lo
	v_sub_f32_e32 v4, v29, v14
	v_cmp_neq_f32_e64 vcc_lo, 0x7f800000, |v23|
	v_mul_f32_e32 v5, 0.5, v20
	v_mul_lo_u32 v3, v3, s8
	v_trunc_f32_e32 v10, v20
	v_cmp_lt_f32_e64 s5, |v21|, 1.0
	s_wait_alu 0xfffd
	v_cndmask_b32_e32 v4, 0, v4, vcc_lo
	v_ldexp_f32 v2, v2, v17
	v_cmp_ngt_f32_e32 vcc_lo, 0xc2ce8ed0, v26
	v_trunc_f32_e32 v11, v5
	v_lshlrev_b64_e32 v[14:15], 2, v[15:16]
	v_add_f32_e32 v4, v8, v4
	v_add3_u32 v13, v13, v33, v3
	s_wait_alu 0xfffd
	v_cndmask_b32_e32 v2, 0, v2, vcc_lo
	v_cmp_nlt_f32_e32 vcc_lo, 0x42b17218, v26
	v_cmp_neq_f32_e64 s0, v11, v5
	s_wait_alu 0xfffd
	s_delay_alu instid0(VALU_DEP_3) | instskip(SKIP_2) | instid1(VALU_DEP_3)
	v_cndmask_b32_e32 v2, 0x7f800000, v2, vcc_lo
	v_cmp_eq_f32_e32 vcc_lo, v10, v20
	v_lshlrev_b64_e32 v[10:11], 2, v[12:13]
	v_fma_f32 v3, v2, v4, v2
	v_cmp_class_f32_e64 s1, v2, 0x204
	s_and_b32 s0, vcc_lo, s0
	s_wait_alu 0xfffe
	v_cndmask_b32_e64 v4, 1.0, v21, s0
	v_cndmask_b32_e64 v16, 0, v21, s0
	v_cndmask_b32_e64 v5, v3, v2, s1
	v_add_co_u32 v2, s1, v6, s2
	s_wait_alu 0xf1ff
	v_add_co_ci_u32_e64 v3, null, s3, v7, s1
	s_delay_alu instid0(VALU_DEP_3)
	v_bfi_b32 v4, 0x7fffffff, v5, v4
	s_xor_b32 s1, s4, s5
	s_mul_i32 s4, s12, s31
	s_wait_alu 0xfffe
	v_cndmask_b32_e64 v5, 0x7f800000, 0, s1
	v_cmp_gt_f32_e64 s1, 0, v20
	v_cndmask_b32_e32 v12, 0x7fc00000, v4, vcc_lo
	v_cmp_neq_f32_e64 vcc_lo, |v21|, 1.0
	v_cmp_eq_f32_e64 s0, 0, v19
	s_ashr_i32 s5, s4, 31
	v_cndmask_b32_e64 v8, 0x7f800000, 0, s1
	s_mov_b32 s3, 0
	s_wait_alu 0xfffd
	v_cndmask_b32_e32 v13, 1.0, v5, vcc_lo
	v_cmp_gt_f32_e32 vcc_lo, 0, v21
	s_wait_alu 0xfffe
	s_lshl_b64 s[4:5], s[4:5], 2
	v_bfi_b32 v16, 0x7fffffff, v8, v16
	s_wait_alu 0xfffd
	v_cndmask_b32_e32 v12, v4, v12, vcc_lo
	v_add_co_u32 v4, vcc_lo, v6, v0
	s_wait_alu 0xfffd
	v_add_co_ci_u32_e64 v5, null, v7, v1, vcc_lo
	v_cmp_class_f32_e64 vcc_lo, v20, 0x204
	s_wait_alu 0xfffd
	v_cndmask_b32_e32 v12, v12, v13, vcc_lo
	v_add_co_u32 v8, vcc_lo, v30, v10
	s_wait_alu 0xfffd
	v_add_co_ci_u32_e64 v10, null, v31, v11, vcc_lo
	v_cmp_class_f32_e64 vcc_lo, v21, 0x204
	s_wait_alu 0xfffd
	v_cndmask_b32_e32 v13, v12, v16, vcc_lo
	v_add_co_u32 v11, vcc_lo, v18, v14
	s_wait_alu 0xfffd
	v_add_co_ci_u32_e64 v12, null, v34, v15, vcc_lo
	v_cmp_o_f32_e32 vcc_lo, v21, v20
	s_wait_alu 0xfffd
	v_cndmask_b32_e32 v13, 0x7fc00000, v13, vcc_lo
	s_branch .LBB37_12
.LBB37_11:                              ;   in Loop: Header=BB37_12 Depth=1
	s_wait_alu 0xfffe
	s_or_b32 exec_lo, exec_lo, s7
	v_add_co_u32 v4, vcc_lo, v4, s4
	s_wait_alu 0xfffd
	v_add_co_ci_u32_e64 v5, null, s5, v5, vcc_lo
	v_add_co_u32 v16, vcc_lo, v8, v0
	s_wait_alu 0xfffd
	v_add_co_ci_u32_e64 v17, null, v10, v1, vcc_lo
	s_delay_alu instid0(VALU_DEP_3)
	v_cmp_ge_u64_e32 vcc_lo, v[4:5], v[2:3]
	v_add_co_u32 v0, s1, v0, s4
	s_wait_alu 0xf1ff
	v_add_co_ci_u32_e64 v1, null, s5, v1, s1
	global_store_b32 v[16:17], v15, off
	s_or_b32 s3, vcc_lo, s3
	s_wait_alu 0xfffe
	s_and_not1_b32 exec_lo, exec_lo, s3
	s_cbranch_execz .LBB37_14
.LBB37_12:                              ; =>This Inner Loop Header: Depth=1
	v_add_co_u32 v14, vcc_lo, v6, v0
	s_wait_alu 0xfffd
	v_add_co_ci_u32_e64 v15, null, v7, v1, vcc_lo
	v_add_co_u32 v16, vcc_lo, v11, v0
	s_wait_alu 0xfffd
	v_add_co_ci_u32_e64 v17, null, v12, v1, vcc_lo
	global_load_b32 v14, v[14:15], off
	global_load_b32 v15, v[16:17], off
	s_wait_loadcnt 0x0
	v_dual_sub_f32 v14, v14, v15 :: v_dual_mov_b32 v15, 0
	s_delay_alu instid0(VALU_DEP_1)
	v_cmp_eq_f32_e32 vcc_lo, 0, v14
	s_and_b32 s1, s6, vcc_lo
	s_wait_alu 0xfffe
	s_nor_b32 s1, s0, s1
	s_wait_alu 0xfffe
	s_and_saveexec_b32 s7, s1
	s_cbranch_execz .LBB37_11
; %bb.13:                               ;   in Loop: Header=BB37_12 Depth=1
	v_cmp_neq_f32_e64 s1, |v14|, 1.0
	s_wait_alu 0xf1ff
	s_delay_alu instid0(VALU_DEP_1) | instskip(NEXT) | instid1(VALU_DEP_1)
	v_cndmask_b32_e64 v17, 1.0, s10, s1
	v_cmp_neq_f32_e32 vcc_lo, 0, v17
	v_cmp_neq_f32_e64 s2, v17, |v17|
	s_wait_alu 0xfffd
	v_cndmask_b32_e64 v18, 1.0, |v14|, vcc_lo
	s_delay_alu instid0(VALU_DEP_1) | instskip(NEXT) | instid1(VALU_DEP_1)
	v_frexp_mant_f32_e32 v15, v18
	v_cmp_gt_f32_e32 vcc_lo, 0x3f2aaaab, v15
	s_wait_alu 0xfffd
	v_cndmask_b32_e64 v16, 1.0, 2.0, vcc_lo
	s_delay_alu instid0(VALU_DEP_1) | instskip(NEXT) | instid1(VALU_DEP_1)
	v_mul_f32_e32 v15, v15, v16
	v_add_f32_e32 v16, 1.0, v15
	v_add_f32_e32 v20, -1.0, v15
	s_delay_alu instid0(VALU_DEP_2) | instskip(NEXT) | instid1(VALU_DEP_1)
	v_add_f32_e32 v22, -1.0, v16
	v_sub_f32_e32 v15, v15, v22
	v_rcp_f32_e32 v19, v16
	s_delay_alu instid0(TRANS32_DEP_1) | instskip(NEXT) | instid1(VALU_DEP_1)
	v_mul_f32_e32 v21, v20, v19
	v_mul_f32_e32 v23, v16, v21
	s_delay_alu instid0(VALU_DEP_1) | instskip(NEXT) | instid1(VALU_DEP_1)
	v_fma_f32 v16, v21, v16, -v23
	v_fmac_f32_e32 v16, v21, v15
	s_delay_alu instid0(VALU_DEP_1) | instskip(NEXT) | instid1(VALU_DEP_1)
	v_add_f32_e32 v15, v23, v16
	v_sub_f32_e32 v22, v20, v15
	s_delay_alu instid0(VALU_DEP_1) | instskip(NEXT) | instid1(VALU_DEP_1)
	v_dual_sub_f32 v23, v15, v23 :: v_dual_sub_f32 v20, v20, v22
	v_dual_sub_f32 v16, v23, v16 :: v_dual_sub_f32 v15, v20, v15
	s_delay_alu instid0(VALU_DEP_1) | instskip(NEXT) | instid1(VALU_DEP_1)
	v_add_f32_e32 v15, v16, v15
	v_add_f32_e32 v15, v22, v15
	s_delay_alu instid0(VALU_DEP_1) | instskip(NEXT) | instid1(VALU_DEP_1)
	v_mul_f32_e32 v15, v19, v15
	v_add_f32_e32 v19, v21, v15
	s_delay_alu instid0(VALU_DEP_1) | instskip(NEXT) | instid1(VALU_DEP_1)
	v_sub_f32_e32 v16, v19, v21
	v_sub_f32_e32 v21, v15, v16
	s_delay_alu instid0(VALU_DEP_1) | instskip(NEXT) | instid1(VALU_DEP_1)
	v_dual_mul_f32 v20, v19, v19 :: v_dual_add_f32 v15, v21, v21
	v_fma_f32 v22, v19, v19, -v20
	s_delay_alu instid0(VALU_DEP_1) | instskip(SKIP_1) | instid1(VALU_DEP_2)
	v_fmac_f32_e32 v22, v19, v15
	v_cvt_f64_f32_e32 v[15:16], v18
	v_add_f32_e32 v23, v20, v22
	s_delay_alu instid0(VALU_DEP_1) | instskip(SKIP_1) | instid1(VALU_DEP_2)
	v_fmaak_f32 v24, s11, v23, 0x3e91f4c4
	v_sub_f32_e32 v20, v23, v20
	v_fmaak_f32 v24, v23, v24, 0x3ecccdef
	s_delay_alu instid0(VALU_DEP_2) | instskip(NEXT) | instid1(VALU_DEP_2)
	v_sub_f32_e32 v20, v22, v20
	v_mul_f32_e32 v25, v23, v24
	s_delay_alu instid0(VALU_DEP_1) | instskip(NEXT) | instid1(VALU_DEP_1)
	v_fma_f32 v22, v23, v24, -v25
	v_dual_fmac_f32 v22, v20, v24 :: v_dual_mul_f32 v27, v19, v23
	s_delay_alu instid0(VALU_DEP_1) | instskip(SKIP_1) | instid1(VALU_DEP_2)
	v_add_f32_e32 v24, v25, v22
	v_frexp_exp_i32_f64_e32 v15, v[15:16]
	v_sub_f32_e32 v25, v24, v25
	s_delay_alu instid0(VALU_DEP_1) | instskip(SKIP_1) | instid1(VALU_DEP_1)
	v_sub_f32_e32 v16, v22, v25
	v_fma_f32 v25, v23, v19, -v27
	v_dual_add_f32 v26, 0x3f2aaaaa, v24 :: v_dual_fmac_f32 v25, v23, v21
	s_delay_alu instid0(VALU_DEP_1) | instskip(SKIP_1) | instid1(VALU_DEP_3)
	v_add_f32_e32 v22, 0xbf2aaaaa, v26
	v_ldexp_f32 v21, v21, 1
	v_dual_fmac_f32 v25, v20, v19 :: v_dual_add_f32 v16, 0x31739010, v16
	s_delay_alu instid0(VALU_DEP_3) | instskip(NEXT) | instid1(VALU_DEP_1)
	v_sub_f32_e32 v22, v24, v22
	v_add_f32_e32 v16, v16, v22
	s_delay_alu instid0(VALU_DEP_1) | instskip(NEXT) | instid1(VALU_DEP_1)
	v_add_f32_e32 v20, v26, v16
	v_sub_f32_e32 v23, v26, v20
	v_subrev_co_ci_u32_e64 v15, null, 0, v15, vcc_lo
	s_delay_alu instid0(VALU_DEP_2) | instskip(NEXT) | instid1(VALU_DEP_2)
	v_add_f32_e32 v16, v16, v23
	v_cvt_f32_i32_e32 v15, v15
	v_add_f32_e32 v22, v27, v25
	s_delay_alu instid0(VALU_DEP_1) | instskip(SKIP_1) | instid1(VALU_DEP_2)
	v_mul_f32_e32 v24, v22, v20
	v_sub_f32_e32 v26, v22, v27
	v_fma_f32 v23, v22, v20, -v24
	s_delay_alu instid0(VALU_DEP_2) | instskip(NEXT) | instid1(VALU_DEP_2)
	v_sub_f32_e32 v25, v25, v26
	v_fmac_f32_e32 v23, v22, v16
	v_ldexp_f32 v16, v19, 1
	s_delay_alu instid0(VALU_DEP_2) | instskip(NEXT) | instid1(VALU_DEP_1)
	v_fmac_f32_e32 v23, v25, v20
	v_add_f32_e32 v19, v24, v23
	s_delay_alu instid0(VALU_DEP_1) | instskip(SKIP_2) | instid1(VALU_DEP_3)
	v_add_f32_e32 v20, v16, v19
	v_sub_f32_e32 v22, v19, v24
	v_mul_f32_e32 v24, 0x3f317218, v15
	v_sub_f32_e32 v16, v20, v16
	s_delay_alu instid0(VALU_DEP_3) | instskip(NEXT) | instid1(VALU_DEP_3)
	v_sub_f32_e32 v22, v23, v22
	v_fma_f32 v23, 0x3f317218, v15, -v24
	s_delay_alu instid0(VALU_DEP_2) | instskip(NEXT) | instid1(VALU_DEP_2)
	v_dual_sub_f32 v16, v19, v16 :: v_dual_add_f32 v19, v21, v22
	v_fmac_f32_e32 v23, 0xb102e308, v15
	s_delay_alu instid0(VALU_DEP_2) | instskip(NEXT) | instid1(VALU_DEP_1)
	v_add_f32_e32 v15, v19, v16
	v_add_f32_e32 v19, v20, v15
	s_delay_alu instid0(VALU_DEP_1) | instskip(NEXT) | instid1(VALU_DEP_1)
	v_sub_f32_e32 v20, v19, v20
	v_dual_sub_f32 v15, v15, v20 :: v_dual_add_f32 v16, v24, v23
	s_delay_alu instid0(VALU_DEP_1) | instskip(NEXT) | instid1(VALU_DEP_1)
	v_sub_f32_e32 v24, v16, v24
	v_sub_f32_e32 v23, v23, v24
	v_add_f32_e32 v21, v16, v19
	s_delay_alu instid0(VALU_DEP_2) | instskip(NEXT) | instid1(VALU_DEP_2)
	v_add_f32_e32 v20, v23, v15
	v_sub_f32_e32 v22, v21, v16
	s_delay_alu instid0(VALU_DEP_1) | instskip(NEXT) | instid1(VALU_DEP_1)
	v_sub_f32_e32 v25, v21, v22
	v_dual_sub_f32 v19, v19, v22 :: v_dual_sub_f32 v16, v16, v25
	s_delay_alu instid0(VALU_DEP_1) | instskip(NEXT) | instid1(VALU_DEP_1)
	v_dual_add_f32 v16, v19, v16 :: v_dual_sub_f32 v19, v20, v23
	v_add_f32_e32 v16, v20, v16
	s_delay_alu instid0(VALU_DEP_2) | instskip(NEXT) | instid1(VALU_DEP_2)
	v_sub_f32_e32 v20, v20, v19
	v_dual_sub_f32 v15, v15, v19 :: v_dual_add_f32 v22, v21, v16
	s_delay_alu instid0(VALU_DEP_1) | instskip(NEXT) | instid1(VALU_DEP_1)
	v_dual_sub_f32 v19, v23, v20 :: v_dual_sub_f32 v20, v22, v21
	v_dual_add_f32 v15, v15, v19 :: v_dual_sub_f32 v16, v16, v20
	s_delay_alu instid0(VALU_DEP_1) | instskip(NEXT) | instid1(VALU_DEP_1)
	v_add_f32_e32 v15, v15, v16
	v_add_f32_e32 v16, v22, v15
	s_delay_alu instid0(VALU_DEP_1) | instskip(NEXT) | instid1(VALU_DEP_1)
	v_dual_sub_f32 v19, v16, v22 :: v_dual_mul_f32 v20, v17, v16
	v_sub_f32_e32 v15, v15, v19
	s_delay_alu instid0(VALU_DEP_2) | instskip(SKIP_1) | instid1(VALU_DEP_2)
	v_fma_f32 v16, v17, v16, -v20
	v_cmp_class_f32_e64 vcc_lo, v20, 0x204
	v_fmac_f32_e32 v16, v17, v15
	s_delay_alu instid0(VALU_DEP_1) | instskip(SKIP_1) | instid1(VALU_DEP_1)
	v_add_f32_e32 v15, v20, v16
	s_wait_alu 0xfffd
	v_cndmask_b32_e32 v19, v15, v20, vcc_lo
	s_delay_alu instid0(VALU_DEP_1) | instskip(SKIP_3) | instid1(VALU_DEP_2)
	v_cmp_eq_f32_e32 vcc_lo, 0x42b17218, v19
	s_wait_alu 0xfffd
	v_cndmask_b32_e64 v21, 0, 0x37000000, vcc_lo
	v_cmp_neq_f32_e64 vcc_lo, 0x7f800000, |v19|
	v_sub_f32_e32 v22, v19, v21
	v_sub_f32_e32 v15, v15, v20
	s_delay_alu instid0(VALU_DEP_2) | instskip(NEXT) | instid1(VALU_DEP_2)
	v_mul_f32_e32 v23, 0x3fb8aa3b, v22
	v_sub_f32_e32 v15, v16, v15
	v_cmp_nlt_f32_e64 s1, 0x42b17218, v22
	s_delay_alu instid0(VALU_DEP_3) | instskip(SKIP_4) | instid1(VALU_DEP_3)
	v_fma_f32 v24, 0x3fb8aa3b, v22, -v23
	v_rndne_f32_e32 v25, v23
	s_wait_alu 0xfffd
	v_cndmask_b32_e32 v15, 0, v15, vcc_lo
	v_cmp_ngt_f32_e32 vcc_lo, 0xc2ce8ed0, v22
	v_dual_fmac_f32 v24, 0x32a5705f, v22 :: v_dual_sub_f32 v23, v23, v25
	v_cvt_i32_f32_e32 v20, v25
	s_delay_alu instid0(VALU_DEP_4) | instskip(NEXT) | instid1(VALU_DEP_3)
	v_add_f32_e32 v15, v21, v15
	v_add_f32_e32 v23, v23, v24
	s_delay_alu instid0(VALU_DEP_1) | instskip(NEXT) | instid1(TRANS32_DEP_1)
	v_exp_f32_e32 v23, v23
	v_ldexp_f32 v16, v23, v20
	s_wait_alu 0xfffd
	s_delay_alu instid0(VALU_DEP_1) | instskip(SKIP_2) | instid1(VALU_DEP_2)
	v_cndmask_b32_e32 v16, 0, v16, vcc_lo
	v_cmp_gt_f32_e32 vcc_lo, 1.0, v18
	s_wait_alu 0xf1ff
	v_cndmask_b32_e64 v16, 0x7f800000, v16, s1
	v_cmp_lt_f32_e64 s1, 0, v14
	s_delay_alu instid0(VALU_DEP_2) | instskip(SKIP_1) | instid1(VALU_DEP_2)
	v_fma_f32 v15, v16, v15, v16
	s_wait_alu 0xf1ff
	v_cndmask_b32_e64 v19, 0, 1, s1
	s_xor_b32 s1, s2, vcc_lo
	v_cmp_neq_f32_e64 s2, 1.0, v18
	s_wait_alu 0xfffe
	v_cndmask_b32_e64 v20, 0x7f800000, 0, s1
	v_cmp_gt_f32_e32 vcc_lo, 0, v17
	v_cmp_eq_f32_e64 s1, 0, v18
	s_wait_alu 0xf1ff
	s_delay_alu instid0(VALU_DEP_3)
	v_cndmask_b32_e64 v20, 1.0, v20, s2
	v_cmp_class_f32_e64 s2, v16, 0x204
	s_xor_b32 s8, vcc_lo, s1
	v_cmp_gt_f32_e32 vcc_lo, 0, v14
	v_cndmask_b32_e64 v15, v15, v16, s2
	s_wait_alu 0xfffe
	v_cndmask_b32_e64 v16, 0x7f800000, 0, s8
	v_cmp_class_f32_e64 s8, v17, 0x204
	v_cmp_eq_f32_e64 s2, 0x7f800000, v18
	s_wait_alu 0xfffd
	v_subrev_co_ci_u32_e64 v14, null, 0, v19, vcc_lo
	s_wait_alu 0xf1ff
	v_cndmask_b32_e64 v15, |v15|, v20, s8
	s_or_b32 vcc_lo, s1, s2
	s_delay_alu instid0(VALU_DEP_2) | instskip(SKIP_1) | instid1(VALU_DEP_2)
	v_cvt_f32_i32_e32 v14, v14
	s_wait_alu 0xfffe
	v_cndmask_b32_e32 v15, v15, v16, vcc_lo
	v_cmp_o_f32_e32 vcc_lo, v18, v17
	s_wait_alu 0xfffd
	s_delay_alu instid0(VALU_DEP_2) | instskip(NEXT) | instid1(VALU_DEP_1)
	v_cndmask_b32_e32 v15, 0x7fc00000, v15, vcc_lo
	v_mul_f32_e32 v14, v15, v14
	s_delay_alu instid0(VALU_DEP_1) | instskip(NEXT) | instid1(VALU_DEP_1)
	v_mul_f32_e32 v14, v9, v14
	v_div_scale_f32 v15, null, v13, v13, v14
	s_delay_alu instid0(VALU_DEP_1) | instskip(NEXT) | instid1(TRANS32_DEP_1)
	v_rcp_f32_e32 v16, v15
	v_fma_f32 v17, -v15, v16, 1.0
	s_delay_alu instid0(VALU_DEP_1) | instskip(SKIP_1) | instid1(VALU_DEP_1)
	v_fmac_f32_e32 v16, v17, v16
	v_div_scale_f32 v17, vcc_lo, v14, v13, v14
	v_mul_f32_e32 v18, v17, v16
	s_delay_alu instid0(VALU_DEP_1) | instskip(NEXT) | instid1(VALU_DEP_1)
	v_fma_f32 v19, -v15, v18, v17
	v_fmac_f32_e32 v18, v19, v16
	s_delay_alu instid0(VALU_DEP_1) | instskip(SKIP_1) | instid1(VALU_DEP_1)
	v_fma_f32 v15, -v15, v18, v17
	s_wait_alu 0xfffd
	v_div_fmas_f32 v15, v15, v16, v18
	s_delay_alu instid0(VALU_DEP_1)
	v_div_fixup_f32 v15, v15, v13, v14
	s_branch .LBB37_11
.LBB37_14:
	s_endpgm
	.section	.rodata,"a",@progbits
	.p2align	6, 0x0
	.amdhsa_kernel _ZN2at6native12_GLOBAL__N_131cdist_backward_kernel_cuda_implIfNS1_5distsIfE6lt_twoEEEvPT_PKS6_S9_S9_S9_S6_lllllll
		.amdhsa_group_segment_fixed_size 0
		.amdhsa_private_segment_fixed_size 0
		.amdhsa_kernarg_size 360
		.amdhsa_user_sgpr_count 2
		.amdhsa_user_sgpr_dispatch_ptr 0
		.amdhsa_user_sgpr_queue_ptr 0
		.amdhsa_user_sgpr_kernarg_segment_ptr 1
		.amdhsa_user_sgpr_dispatch_id 0
		.amdhsa_user_sgpr_private_segment_size 0
		.amdhsa_wavefront_size32 1
		.amdhsa_uses_dynamic_stack 0
		.amdhsa_enable_private_segment 0
		.amdhsa_system_sgpr_workgroup_id_x 1
		.amdhsa_system_sgpr_workgroup_id_y 1
		.amdhsa_system_sgpr_workgroup_id_z 1
		.amdhsa_system_sgpr_workgroup_info 0
		.amdhsa_system_vgpr_workitem_id 1
		.amdhsa_next_free_vgpr 35
		.amdhsa_next_free_sgpr 32
		.amdhsa_reserve_vcc 1
		.amdhsa_float_round_mode_32 0
		.amdhsa_float_round_mode_16_64 0
		.amdhsa_float_denorm_mode_32 3
		.amdhsa_float_denorm_mode_16_64 3
		.amdhsa_fp16_overflow 0
		.amdhsa_workgroup_processor_mode 1
		.amdhsa_memory_ordered 1
		.amdhsa_forward_progress 1
		.amdhsa_inst_pref_size 42
		.amdhsa_round_robin_scheduling 0
		.amdhsa_exception_fp_ieee_invalid_op 0
		.amdhsa_exception_fp_denorm_src 0
		.amdhsa_exception_fp_ieee_div_zero 0
		.amdhsa_exception_fp_ieee_overflow 0
		.amdhsa_exception_fp_ieee_underflow 0
		.amdhsa_exception_fp_ieee_inexact 0
		.amdhsa_exception_int_div_zero 0
	.end_amdhsa_kernel
	.section	.text._ZN2at6native12_GLOBAL__N_131cdist_backward_kernel_cuda_implIfNS1_5distsIfE6lt_twoEEEvPT_PKS6_S9_S9_S9_S6_lllllll,"axG",@progbits,_ZN2at6native12_GLOBAL__N_131cdist_backward_kernel_cuda_implIfNS1_5distsIfE6lt_twoEEEvPT_PKS6_S9_S9_S9_S6_lllllll,comdat
.Lfunc_end37:
	.size	_ZN2at6native12_GLOBAL__N_131cdist_backward_kernel_cuda_implIfNS1_5distsIfE6lt_twoEEEvPT_PKS6_S9_S9_S9_S6_lllllll, .Lfunc_end37-_ZN2at6native12_GLOBAL__N_131cdist_backward_kernel_cuda_implIfNS1_5distsIfE6lt_twoEEEvPT_PKS6_S9_S9_S9_S6_lllllll
                                        ; -- End function
	.set _ZN2at6native12_GLOBAL__N_131cdist_backward_kernel_cuda_implIfNS1_5distsIfE6lt_twoEEEvPT_PKS6_S9_S9_S9_S6_lllllll.num_vgpr, 35
	.set _ZN2at6native12_GLOBAL__N_131cdist_backward_kernel_cuda_implIfNS1_5distsIfE6lt_twoEEEvPT_PKS6_S9_S9_S9_S6_lllllll.num_agpr, 0
	.set _ZN2at6native12_GLOBAL__N_131cdist_backward_kernel_cuda_implIfNS1_5distsIfE6lt_twoEEEvPT_PKS6_S9_S9_S9_S6_lllllll.numbered_sgpr, 32
	.set _ZN2at6native12_GLOBAL__N_131cdist_backward_kernel_cuda_implIfNS1_5distsIfE6lt_twoEEEvPT_PKS6_S9_S9_S9_S6_lllllll.num_named_barrier, 0
	.set _ZN2at6native12_GLOBAL__N_131cdist_backward_kernel_cuda_implIfNS1_5distsIfE6lt_twoEEEvPT_PKS6_S9_S9_S9_S6_lllllll.private_seg_size, 0
	.set _ZN2at6native12_GLOBAL__N_131cdist_backward_kernel_cuda_implIfNS1_5distsIfE6lt_twoEEEvPT_PKS6_S9_S9_S9_S6_lllllll.uses_vcc, 1
	.set _ZN2at6native12_GLOBAL__N_131cdist_backward_kernel_cuda_implIfNS1_5distsIfE6lt_twoEEEvPT_PKS6_S9_S9_S9_S6_lllllll.uses_flat_scratch, 0
	.set _ZN2at6native12_GLOBAL__N_131cdist_backward_kernel_cuda_implIfNS1_5distsIfE6lt_twoEEEvPT_PKS6_S9_S9_S9_S6_lllllll.has_dyn_sized_stack, 0
	.set _ZN2at6native12_GLOBAL__N_131cdist_backward_kernel_cuda_implIfNS1_5distsIfE6lt_twoEEEvPT_PKS6_S9_S9_S9_S6_lllllll.has_recursion, 0
	.set _ZN2at6native12_GLOBAL__N_131cdist_backward_kernel_cuda_implIfNS1_5distsIfE6lt_twoEEEvPT_PKS6_S9_S9_S9_S6_lllllll.has_indirect_call, 0
	.section	.AMDGPU.csdata,"",@progbits
; Kernel info:
; codeLenInByte = 5352
; TotalNumSgprs: 34
; NumVgprs: 35
; ScratchSize: 0
; MemoryBound: 0
; FloatMode: 240
; IeeeMode: 1
; LDSByteSize: 0 bytes/workgroup (compile time only)
; SGPRBlocks: 0
; VGPRBlocks: 4
; NumSGPRsForWavesPerEU: 34
; NumVGPRsForWavesPerEU: 35
; Occupancy: 16
; WaveLimiterHint : 0
; COMPUTE_PGM_RSRC2:SCRATCH_EN: 0
; COMPUTE_PGM_RSRC2:USER_SGPR: 2
; COMPUTE_PGM_RSRC2:TRAP_HANDLER: 0
; COMPUTE_PGM_RSRC2:TGID_X_EN: 1
; COMPUTE_PGM_RSRC2:TGID_Y_EN: 1
; COMPUTE_PGM_RSRC2:TGID_Z_EN: 1
; COMPUTE_PGM_RSRC2:TIDIG_COMP_CNT: 1
	.section	.text._ZN2at6native12_GLOBAL__N_131cdist_backward_kernel_cuda_implIfNS1_5distsIfE3twoEEEvPT_PKS6_S9_S9_S9_S6_lllllll,"axG",@progbits,_ZN2at6native12_GLOBAL__N_131cdist_backward_kernel_cuda_implIfNS1_5distsIfE3twoEEEvPT_PKS6_S9_S9_S9_S6_lllllll,comdat
	.globl	_ZN2at6native12_GLOBAL__N_131cdist_backward_kernel_cuda_implIfNS1_5distsIfE3twoEEEvPT_PKS6_S9_S9_S9_S6_lllllll ; -- Begin function _ZN2at6native12_GLOBAL__N_131cdist_backward_kernel_cuda_implIfNS1_5distsIfE3twoEEEvPT_PKS6_S9_S9_S9_S6_lllllll
	.p2align	8
	.type	_ZN2at6native12_GLOBAL__N_131cdist_backward_kernel_cuda_implIfNS1_5distsIfE3twoEEEvPT_PKS6_S9_S9_S9_S6_lllllll,@function
_ZN2at6native12_GLOBAL__N_131cdist_backward_kernel_cuda_implIfNS1_5distsIfE3twoEEEvPT_PKS6_S9_S9_S9_S6_lllllll: ; @_ZN2at6native12_GLOBAL__N_131cdist_backward_kernel_cuda_implIfNS1_5distsIfE3twoEEEvPT_PKS6_S9_S9_S9_S6_lllllll
; %bb.0:
	s_clause 0x1
	s_load_b64 s[2:3], s[0:1], 0x70
	s_load_b256 s[4:11], s[0:1], 0x30
	s_and_b32 s12, ttmp7, 0xffff
	v_bfe_u32 v1, v0, 10, 10
	s_lshr_b32 s13, ttmp7, 16
	s_wait_kmcnt 0x0
	s_mul_i32 s2, s2, s12
	s_lshr_b32 s12, s3, 16
	s_add_co_i32 s2, s2, s13
	s_delay_alu instid0(SALU_CYCLE_1) | instskip(SKIP_2) | instid1(VALU_DEP_1)
	v_mad_co_u64_u32 v[2:3], null, s2, s12, v[1:2]
	s_mov_b32 s2, exec_lo
	v_ashrrev_i32_e32 v3, 31, v2
	v_cmpx_gt_i64_e64 s[10:11], v[2:3]
	s_cbranch_execz .LBB38_14
; %bb.1:
	v_and_b32_e32 v0, 0x3ff, v0
	s_and_b32 s3, s3, 0xffff
	s_load_b256 s[12:19], s[0:1], 0x50
	s_delay_alu instid0(VALU_DEP_1) | instskip(NEXT) | instid1(VALU_DEP_1)
	v_mad_co_u64_u32 v[0:1], null, ttmp9, s3, v[0:1]
	v_ashrrev_i32_e32 v1, 31, v0
	s_delay_alu instid0(VALU_DEP_1)
	v_cmp_gt_i64_e32 vcc_lo, s[8:9], v[0:1]
	s_and_b32 exec_lo, exec_lo, vcc_lo
	s_cbranch_execz .LBB38_14
; %bb.2:
	s_wait_kmcnt 0x0
	v_or_b32_e32 v5, s13, v3
	v_mov_b32_e32 v4, 0
	s_delay_alu instid0(VALU_DEP_1)
	v_cmp_ne_u64_e32 vcc_lo, 0, v[4:5]
                                        ; implicit-def: $vgpr4_vgpr5
	s_and_saveexec_b32 s2, vcc_lo
	s_wait_alu 0xfffe
	s_xor_b32 s20, exec_lo, s2
	s_cbranch_execz .LBB38_4
; %bb.3:
	s_ashr_i32 s10, s13, 31
	s_mov_b32 s29, 0
	s_wait_alu 0xfffe
	s_mov_b32 s11, s10
	v_ashrrev_i32_e32 v10, 31, v3
	s_wait_alu 0xfffe
	s_add_nc_u64 s[18:19], s[12:13], s[10:11]
	s_delay_alu instid0(SALU_CYCLE_1) | instskip(NEXT) | instid1(VALU_DEP_1)
	s_xor_b64 s[18:19], s[18:19], s[10:11]
	v_add_co_u32 v4, vcc_lo, v2, v10
	s_cvt_f32_u32 s2, s18
	s_cvt_f32_u32 s11, s19
	s_sub_nc_u64 s[24:25], 0, s[18:19]
	v_add_co_ci_u32_e64 v5, null, v3, v10, vcc_lo
	s_wait_alu 0xfffe
	s_fmamk_f32 s2, s11, 0x4f800000, s2
	v_xor_b32_e32 v11, v4, v10
	s_delay_alu instid0(VALU_DEP_2) | instskip(SKIP_2) | instid1(TRANS32_DEP_1)
	v_xor_b32_e32 v12, v5, v10
	s_wait_alu 0xfffe
	v_s_rcp_f32 s2, s2
	s_mul_f32 s2, s2, 0x5f7ffffc
	s_wait_alu 0xfffe
	s_delay_alu instid0(SALU_CYCLE_2) | instskip(SKIP_1) | instid1(SALU_CYCLE_2)
	s_mul_f32 s11, s2, 0x2f800000
	s_wait_alu 0xfffe
	s_trunc_f32 s11, s11
	s_wait_alu 0xfffe
	s_delay_alu instid0(SALU_CYCLE_2) | instskip(SKIP_2) | instid1(SALU_CYCLE_1)
	s_fmamk_f32 s2, s11, 0xcf800000, s2
	s_cvt_u32_f32 s23, s11
	s_wait_alu 0xfffe
	s_cvt_u32_f32 s22, s2
	s_delay_alu instid0(SALU_CYCLE_3) | instskip(NEXT) | instid1(SALU_CYCLE_1)
	s_mul_u64 s[26:27], s[24:25], s[22:23]
	s_mul_hi_u32 s31, s22, s27
	s_mul_i32 s30, s22, s27
	s_mul_hi_u32 s28, s22, s26
	s_mul_i32 s11, s23, s26
	s_add_nc_u64 s[30:31], s[28:29], s[30:31]
	s_mul_hi_u32 s2, s23, s26
	s_mul_hi_u32 s21, s23, s27
	s_wait_alu 0xfffe
	s_add_co_u32 s11, s30, s11
	s_add_co_ci_u32 s28, s31, s2
	s_mul_i32 s26, s23, s27
	s_add_co_ci_u32 s27, s21, 0
	s_delay_alu instid0(SALU_CYCLE_1) | instskip(NEXT) | instid1(SALU_CYCLE_1)
	s_add_nc_u64 s[26:27], s[28:29], s[26:27]
	s_add_co_u32 s22, s22, s26
	s_cselect_b32 s2, -1, 0
	s_wait_alu 0xfffe
	s_cmp_lg_u32 s2, 0
	s_add_co_ci_u32 s23, s23, s27
	s_delay_alu instid0(SALU_CYCLE_1) | instskip(NEXT) | instid1(SALU_CYCLE_1)
	s_mul_u64 s[24:25], s[24:25], s[22:23]
	s_mul_hi_u32 s27, s22, s25
	s_mul_i32 s26, s22, s25
	s_mul_hi_u32 s28, s22, s24
	s_mul_i32 s11, s23, s24
	s_add_nc_u64 s[26:27], s[28:29], s[26:27]
	s_mul_hi_u32 s2, s23, s24
	s_mul_hi_u32 s21, s23, s25
	s_wait_alu 0xfffe
	s_add_co_u32 s11, s26, s11
	s_add_co_ci_u32 s28, s27, s2
	s_mul_i32 s24, s23, s25
	s_add_co_ci_u32 s25, s21, 0
	s_delay_alu instid0(SALU_CYCLE_1) | instskip(NEXT) | instid1(SALU_CYCLE_1)
	s_add_nc_u64 s[24:25], s[28:29], s[24:25]
	s_add_co_u32 s2, s22, s24
	s_cselect_b32 s11, -1, 0
	s_wait_alu 0xfffe
	v_mul_hi_u32 v13, v11, s2
	s_cmp_lg_u32 s11, 0
	v_mad_co_u64_u32 v[6:7], null, v12, s2, 0
	s_add_co_ci_u32 s11, s23, s25
	s_wait_alu 0xfffe
	v_mad_co_u64_u32 v[4:5], null, v11, s11, 0
	v_mad_co_u64_u32 v[8:9], null, v12, s11, 0
	s_delay_alu instid0(VALU_DEP_2) | instskip(SKIP_1) | instid1(VALU_DEP_3)
	v_add_co_u32 v4, vcc_lo, v13, v4
	s_wait_alu 0xfffd
	v_add_co_ci_u32_e64 v5, null, 0, v5, vcc_lo
	s_delay_alu instid0(VALU_DEP_2) | instskip(SKIP_1) | instid1(VALU_DEP_2)
	v_add_co_u32 v4, vcc_lo, v4, v6
	s_wait_alu 0xfffd
	v_add_co_ci_u32_e32 v4, vcc_lo, v5, v7, vcc_lo
	s_wait_alu 0xfffd
	v_add_co_ci_u32_e32 v5, vcc_lo, 0, v9, vcc_lo
	s_delay_alu instid0(VALU_DEP_2) | instskip(SKIP_1) | instid1(VALU_DEP_2)
	v_add_co_u32 v6, vcc_lo, v4, v8
	s_wait_alu 0xfffd
	v_add_co_ci_u32_e64 v7, null, 0, v5, vcc_lo
	s_delay_alu instid0(VALU_DEP_2) | instskip(SKIP_1) | instid1(VALU_DEP_3)
	v_mul_lo_u32 v8, s19, v6
	v_mad_co_u64_u32 v[4:5], null, s18, v6, 0
	v_mul_lo_u32 v9, s18, v7
	s_delay_alu instid0(VALU_DEP_2) | instskip(NEXT) | instid1(VALU_DEP_2)
	v_sub_co_u32 v4, vcc_lo, v11, v4
	v_add3_u32 v5, v5, v9, v8
	v_add_co_u32 v9, s2, v6, 2
	s_wait_alu 0xf1ff
	v_add_co_ci_u32_e64 v11, null, 0, v7, s2
	s_delay_alu instid0(VALU_DEP_3) | instskip(SKIP_3) | instid1(VALU_DEP_3)
	v_sub_nc_u32_e32 v8, v12, v5
	v_sub_co_u32 v13, s2, v4, s18
	s_wait_alu 0xfffd
	v_sub_co_ci_u32_e64 v5, null, v12, v5, vcc_lo
	v_subrev_co_ci_u32_e64 v8, null, s19, v8, vcc_lo
	s_delay_alu instid0(VALU_DEP_3) | instskip(SKIP_1) | instid1(VALU_DEP_2)
	v_cmp_le_u32_e32 vcc_lo, s18, v13
	s_wait_alu 0xf1ff
	v_subrev_co_ci_u32_e64 v8, null, 0, v8, s2
	s_wait_alu 0xfffd
	v_cndmask_b32_e64 v12, 0, -1, vcc_lo
	s_delay_alu instid0(VALU_DEP_2)
	v_cmp_le_u32_e32 vcc_lo, s19, v8
	s_wait_alu 0xfffd
	v_cndmask_b32_e64 v13, 0, -1, vcc_lo
	v_cmp_le_u32_e32 vcc_lo, s18, v4
	s_wait_alu 0xfffd
	v_cndmask_b32_e64 v4, 0, -1, vcc_lo
	;; [unrolled: 3-line block ×3, first 2 shown]
	v_cmp_eq_u32_e32 vcc_lo, s19, v8
	s_wait_alu 0xfffd
	v_cndmask_b32_e32 v8, v13, v12, vcc_lo
	v_add_co_u32 v12, vcc_lo, v6, 1
	s_wait_alu 0xfffd
	v_add_co_ci_u32_e64 v13, null, 0, v7, vcc_lo
	v_cmp_eq_u32_e32 vcc_lo, s19, v5
	s_wait_alu 0xfffd
	v_cndmask_b32_e32 v4, v14, v4, vcc_lo
	v_cmp_ne_u32_e32 vcc_lo, 0, v8
	v_xor_b32_e32 v8, s10, v10
	s_wait_alu 0xfffd
	v_cndmask_b32_e32 v5, v13, v11, vcc_lo
	v_cmp_ne_u32_e64 s2, 0, v4
	v_cndmask_b32_e32 v4, v12, v9, vcc_lo
	s_wait_alu 0xf1ff
	s_delay_alu instid0(VALU_DEP_2) | instskip(NEXT) | instid1(VALU_DEP_2)
	v_cndmask_b32_e64 v5, v7, v5, s2
	v_cndmask_b32_e64 v4, v6, v4, s2
	s_delay_alu instid0(VALU_DEP_2) | instskip(NEXT) | instid1(VALU_DEP_2)
	v_xor_b32_e32 v5, v5, v8
	v_xor_b32_e32 v4, v4, v8
	s_delay_alu instid0(VALU_DEP_1) | instskip(SKIP_1) | instid1(VALU_DEP_3)
	v_sub_co_u32 v4, vcc_lo, v4, v8
	s_wait_alu 0xfffd
	v_sub_co_ci_u32_e64 v5, null, v5, v8, vcc_lo
.LBB38_4:
	s_and_not1_saveexec_b32 s2, s20
	s_cbranch_execz .LBB38_6
; %bb.5:
	v_cvt_f32_u32_e32 v4, s12
	s_sub_co_i32 s10, 0, s12
	s_delay_alu instid0(VALU_DEP_1) | instskip(NEXT) | instid1(TRANS32_DEP_1)
	v_rcp_iflag_f32_e32 v4, v4
	v_mul_f32_e32 v4, 0x4f7ffffe, v4
	s_delay_alu instid0(VALU_DEP_1) | instskip(SKIP_1) | instid1(VALU_DEP_1)
	v_cvt_u32_f32_e32 v4, v4
	s_wait_alu 0xfffe
	v_mul_lo_u32 v5, s10, v4
	s_delay_alu instid0(VALU_DEP_1) | instskip(NEXT) | instid1(VALU_DEP_1)
	v_mul_hi_u32 v5, v4, v5
	v_add_nc_u32_e32 v4, v4, v5
	s_delay_alu instid0(VALU_DEP_1) | instskip(NEXT) | instid1(VALU_DEP_1)
	v_mul_hi_u32 v4, v2, v4
	v_mul_lo_u32 v5, v4, s12
	v_add_nc_u32_e32 v6, 1, v4
	s_delay_alu instid0(VALU_DEP_2) | instskip(NEXT) | instid1(VALU_DEP_1)
	v_sub_nc_u32_e32 v5, v2, v5
	v_subrev_nc_u32_e32 v7, s12, v5
	v_cmp_le_u32_e32 vcc_lo, s12, v5
	s_wait_alu 0xfffd
	s_delay_alu instid0(VALU_DEP_2) | instskip(NEXT) | instid1(VALU_DEP_1)
	v_dual_cndmask_b32 v5, v5, v7 :: v_dual_cndmask_b32 v4, v4, v6
	v_cmp_le_u32_e32 vcc_lo, s12, v5
	s_delay_alu instid0(VALU_DEP_2) | instskip(SKIP_1) | instid1(VALU_DEP_1)
	v_dual_mov_b32 v5, 0 :: v_dual_add_nc_u32 v6, 1, v4
	s_wait_alu 0xfffd
	v_cndmask_b32_e32 v4, v4, v6, vcc_lo
.LBB38_6:
	s_wait_alu 0xfffe
	s_or_b32 exec_lo, exec_lo, s2
	v_mul_lo_u32 v7, v5, s12
	s_delay_alu instid0(VALU_DEP_2)
	v_mul_lo_u32 v8, v4, s13
	v_mad_co_u64_u32 v[5:6], null, v4, s12, 0
	s_add_nc_u64 s[10:11], s[0:1], 0x68
	v_add3_u32 v6, v6, v8, v7
	v_sub_co_u32 v8, vcc_lo, v2, v5
	s_wait_alu 0xfffd
	s_delay_alu instid0(VALU_DEP_2) | instskip(SKIP_1) | instid1(VALU_DEP_2)
	v_sub_co_ci_u32_e64 v9, null, v3, v6, vcc_lo
	v_mov_b32_e32 v6, 0
	v_or_b32_e32 v7, s7, v9
	s_delay_alu instid0(VALU_DEP_1)
	v_cmp_ne_u64_e32 vcc_lo, 0, v[6:7]
                                        ; implicit-def: $vgpr6_vgpr7
	s_and_saveexec_b32 s2, vcc_lo
	s_wait_alu 0xfffe
	s_xor_b32 s20, exec_lo, s2
	s_cbranch_execz .LBB38_8
; %bb.7:
	s_ashr_i32 s12, s7, 31
	s_mov_b32 s29, 0
	s_wait_alu 0xfffe
	s_mov_b32 s13, s12
	v_ashrrev_i32_e32 v14, 31, v9
	s_wait_alu 0xfffe
	s_add_nc_u64 s[18:19], s[6:7], s[12:13]
	s_wait_alu 0xfffe
	s_xor_b64 s[18:19], s[18:19], s[12:13]
	v_add_co_u32 v6, vcc_lo, v8, v14
	s_wait_alu 0xfffe
	s_cvt_f32_u32 s2, s18
	s_cvt_f32_u32 s13, s19
	s_sub_nc_u64 s[24:25], 0, s[18:19]
	s_wait_alu 0xfffd
	v_add_co_ci_u32_e64 v7, null, v9, v14, vcc_lo
	s_wait_alu 0xfffe
	s_fmamk_f32 s2, s13, 0x4f800000, s2
	v_xor_b32_e32 v15, v6, v14
	s_delay_alu instid0(VALU_DEP_2) | instskip(SKIP_2) | instid1(TRANS32_DEP_1)
	v_xor_b32_e32 v16, v7, v14
	s_wait_alu 0xfffe
	v_s_rcp_f32 s2, s2
	s_mul_f32 s2, s2, 0x5f7ffffc
	s_wait_alu 0xfffe
	s_delay_alu instid0(SALU_CYCLE_2) | instskip(SKIP_1) | instid1(SALU_CYCLE_2)
	s_mul_f32 s13, s2, 0x2f800000
	s_wait_alu 0xfffe
	s_trunc_f32 s13, s13
	s_wait_alu 0xfffe
	s_delay_alu instid0(SALU_CYCLE_2) | instskip(SKIP_2) | instid1(SALU_CYCLE_1)
	s_fmamk_f32 s2, s13, 0xcf800000, s2
	s_cvt_u32_f32 s23, s13
	s_wait_alu 0xfffe
	s_cvt_u32_f32 s22, s2
	s_delay_alu instid0(SALU_CYCLE_3) | instskip(NEXT) | instid1(SALU_CYCLE_1)
	s_mul_u64 s[26:27], s[24:25], s[22:23]
	s_mul_hi_u32 s31, s22, s27
	s_mul_i32 s30, s22, s27
	s_mul_hi_u32 s28, s22, s26
	s_mul_i32 s13, s23, s26
	s_add_nc_u64 s[30:31], s[28:29], s[30:31]
	s_mul_hi_u32 s2, s23, s26
	s_mul_hi_u32 s21, s23, s27
	s_wait_alu 0xfffe
	s_add_co_u32 s13, s30, s13
	s_add_co_ci_u32 s28, s31, s2
	s_mul_i32 s26, s23, s27
	s_add_co_ci_u32 s27, s21, 0
	s_delay_alu instid0(SALU_CYCLE_1) | instskip(NEXT) | instid1(SALU_CYCLE_1)
	s_add_nc_u64 s[26:27], s[28:29], s[26:27]
	s_add_co_u32 s22, s22, s26
	s_cselect_b32 s2, -1, 0
	s_wait_alu 0xfffe
	s_cmp_lg_u32 s2, 0
	s_add_co_ci_u32 s23, s23, s27
	s_delay_alu instid0(SALU_CYCLE_1) | instskip(NEXT) | instid1(SALU_CYCLE_1)
	s_mul_u64 s[24:25], s[24:25], s[22:23]
	s_mul_hi_u32 s27, s22, s25
	s_mul_i32 s26, s22, s25
	s_mul_hi_u32 s28, s22, s24
	s_mul_i32 s13, s23, s24
	s_add_nc_u64 s[26:27], s[28:29], s[26:27]
	s_mul_hi_u32 s2, s23, s24
	s_mul_hi_u32 s21, s23, s25
	s_wait_alu 0xfffe
	s_add_co_u32 s13, s26, s13
	s_add_co_ci_u32 s28, s27, s2
	s_mul_i32 s24, s23, s25
	s_add_co_ci_u32 s25, s21, 0
	s_delay_alu instid0(SALU_CYCLE_1) | instskip(NEXT) | instid1(SALU_CYCLE_1)
	s_add_nc_u64 s[24:25], s[28:29], s[24:25]
	s_add_co_u32 s2, s22, s24
	s_cselect_b32 s13, -1, 0
	s_wait_alu 0xfffe
	v_mul_hi_u32 v17, v15, s2
	s_cmp_lg_u32 s13, 0
	v_mad_co_u64_u32 v[10:11], null, v16, s2, 0
	s_add_co_ci_u32 s13, s23, s25
	s_wait_alu 0xfffe
	v_mad_co_u64_u32 v[6:7], null, v15, s13, 0
	v_mad_co_u64_u32 v[12:13], null, v16, s13, 0
	s_delay_alu instid0(VALU_DEP_2) | instskip(SKIP_1) | instid1(VALU_DEP_3)
	v_add_co_u32 v6, vcc_lo, v17, v6
	s_wait_alu 0xfffd
	v_add_co_ci_u32_e64 v7, null, 0, v7, vcc_lo
	s_delay_alu instid0(VALU_DEP_2) | instskip(SKIP_1) | instid1(VALU_DEP_2)
	v_add_co_u32 v6, vcc_lo, v6, v10
	s_wait_alu 0xfffd
	v_add_co_ci_u32_e32 v6, vcc_lo, v7, v11, vcc_lo
	s_wait_alu 0xfffd
	v_add_co_ci_u32_e32 v7, vcc_lo, 0, v13, vcc_lo
	s_delay_alu instid0(VALU_DEP_2) | instskip(SKIP_1) | instid1(VALU_DEP_2)
	v_add_co_u32 v10, vcc_lo, v6, v12
	s_wait_alu 0xfffd
	v_add_co_ci_u32_e64 v11, null, 0, v7, vcc_lo
	s_delay_alu instid0(VALU_DEP_2) | instskip(SKIP_1) | instid1(VALU_DEP_3)
	v_mul_lo_u32 v12, s19, v10
	v_mad_co_u64_u32 v[6:7], null, s18, v10, 0
	v_mul_lo_u32 v13, s18, v11
	s_delay_alu instid0(VALU_DEP_2) | instskip(NEXT) | instid1(VALU_DEP_2)
	v_sub_co_u32 v6, vcc_lo, v15, v6
	v_add3_u32 v7, v7, v13, v12
	v_add_co_u32 v13, s2, v10, 2
	s_wait_alu 0xf1ff
	v_add_co_ci_u32_e64 v15, null, 0, v11, s2
	s_delay_alu instid0(VALU_DEP_3) | instskip(SKIP_3) | instid1(VALU_DEP_3)
	v_sub_nc_u32_e32 v12, v16, v7
	v_sub_co_u32 v17, s2, v6, s18
	s_wait_alu 0xfffd
	v_sub_co_ci_u32_e64 v7, null, v16, v7, vcc_lo
	v_subrev_co_ci_u32_e64 v12, null, s19, v12, vcc_lo
	s_delay_alu instid0(VALU_DEP_3) | instskip(SKIP_1) | instid1(VALU_DEP_2)
	v_cmp_le_u32_e32 vcc_lo, s18, v17
	s_wait_alu 0xf1ff
	v_subrev_co_ci_u32_e64 v12, null, 0, v12, s2
	s_wait_alu 0xfffd
	v_cndmask_b32_e64 v16, 0, -1, vcc_lo
	s_delay_alu instid0(VALU_DEP_2)
	v_cmp_le_u32_e32 vcc_lo, s19, v12
	s_wait_alu 0xfffd
	v_cndmask_b32_e64 v17, 0, -1, vcc_lo
	v_cmp_le_u32_e32 vcc_lo, s18, v6
	s_wait_alu 0xfffd
	v_cndmask_b32_e64 v6, 0, -1, vcc_lo
	;; [unrolled: 3-line block ×3, first 2 shown]
	v_cmp_eq_u32_e32 vcc_lo, s19, v12
	s_wait_alu 0xfffd
	v_cndmask_b32_e32 v12, v17, v16, vcc_lo
	v_add_co_u32 v16, vcc_lo, v10, 1
	s_wait_alu 0xfffd
	v_add_co_ci_u32_e64 v17, null, 0, v11, vcc_lo
	v_cmp_eq_u32_e32 vcc_lo, s19, v7
	s_wait_alu 0xfffd
	v_cndmask_b32_e32 v6, v18, v6, vcc_lo
	v_cmp_ne_u32_e32 vcc_lo, 0, v12
	v_xor_b32_e32 v12, s12, v14
	s_wait_alu 0xfffd
	v_cndmask_b32_e32 v7, v17, v15, vcc_lo
	v_cmp_ne_u32_e64 s2, 0, v6
	v_cndmask_b32_e32 v6, v16, v13, vcc_lo
	s_wait_alu 0xf1ff
	s_delay_alu instid0(VALU_DEP_2) | instskip(NEXT) | instid1(VALU_DEP_2)
	v_cndmask_b32_e64 v7, v11, v7, s2
	v_cndmask_b32_e64 v6, v10, v6, s2
	s_delay_alu instid0(VALU_DEP_2) | instskip(NEXT) | instid1(VALU_DEP_2)
	v_xor_b32_e32 v7, v7, v12
	v_xor_b32_e32 v6, v6, v12
	s_delay_alu instid0(VALU_DEP_1) | instskip(SKIP_1) | instid1(VALU_DEP_3)
	v_sub_co_u32 v6, vcc_lo, v6, v12
	s_wait_alu 0xfffd
	v_sub_co_ci_u32_e64 v7, null, v7, v12, vcc_lo
.LBB38_8:
	s_or_saveexec_b32 s12, s20
	s_load_b32 s2, s[10:11], 0x0
	s_xor_b32 exec_lo, exec_lo, s12
	s_cbranch_execz .LBB38_10
; %bb.9:
	v_cvt_f32_u32_e32 v6, s6
	s_sub_co_i32 s10, 0, s6
	s_delay_alu instid0(VALU_DEP_1) | instskip(NEXT) | instid1(TRANS32_DEP_1)
	v_rcp_iflag_f32_e32 v6, v6
	v_mul_f32_e32 v6, 0x4f7ffffe, v6
	s_delay_alu instid0(VALU_DEP_1) | instskip(SKIP_1) | instid1(VALU_DEP_1)
	v_cvt_u32_f32_e32 v6, v6
	s_wait_alu 0xfffe
	v_mul_lo_u32 v7, s10, v6
	s_delay_alu instid0(VALU_DEP_1) | instskip(NEXT) | instid1(VALU_DEP_1)
	v_mul_hi_u32 v7, v6, v7
	v_add_nc_u32_e32 v6, v6, v7
	s_delay_alu instid0(VALU_DEP_1) | instskip(NEXT) | instid1(VALU_DEP_1)
	v_mul_hi_u32 v6, v8, v6
	v_mul_lo_u32 v7, v6, s6
	v_add_nc_u32_e32 v10, 1, v6
	s_delay_alu instid0(VALU_DEP_2) | instskip(NEXT) | instid1(VALU_DEP_1)
	v_sub_nc_u32_e32 v7, v8, v7
	v_subrev_nc_u32_e32 v11, s6, v7
	v_cmp_le_u32_e32 vcc_lo, s6, v7
	s_wait_alu 0xfffd
	s_delay_alu instid0(VALU_DEP_2) | instskip(NEXT) | instid1(VALU_DEP_1)
	v_dual_cndmask_b32 v7, v7, v11 :: v_dual_cndmask_b32 v6, v6, v10
	v_cmp_le_u32_e32 vcc_lo, s6, v7
	s_delay_alu instid0(VALU_DEP_2) | instskip(SKIP_1) | instid1(VALU_DEP_1)
	v_dual_mov_b32 v7, 0 :: v_dual_add_nc_u32 v10, 1, v6
	s_wait_alu 0xfffd
	v_cndmask_b32_e32 v6, v6, v10, vcc_lo
.LBB38_10:
	s_or_b32 exec_lo, exec_lo, s12
	s_clause 0x1
	s_load_b64 s[10:11], s[0:1], 0x20
	s_load_b256 s[20:27], s[0:1], 0x0
	v_lshlrev_b64_e32 v[2:3], 2, v[2:3]
	v_ashrrev_i32_e32 v16, 31, v4
	v_mul_lo_u32 v21, v7, s6
	v_mul_lo_u32 v22, v6, s7
	v_mad_co_u64_u32 v[12:13], null, v6, s6, 0
	v_mul_lo_u32 v17, v4, s15
	v_mul_lo_u32 v18, v16, s14
	;; [unrolled: 1-line block ×4, first 2 shown]
	v_mad_co_u64_u32 v[14:15], null, v6, s8, 0
	v_add3_u32 v13, v13, v22, v21
	v_mul_lo_u32 v21, v4, s17
	v_mul_lo_u32 v22, v16, s16
	v_lshlrev_b64_e32 v[0:1], 2, v[0:1]
	s_lshl_b64 s[0:1], s[8:9], 2
	s_wait_kmcnt 0x0
	s_mul_i32 s2, s2, s3
	v_add_co_u32 v10, vcc_lo, s10, v2
	s_wait_alu 0xfffd
	v_add_co_ci_u32_e64 v11, null, s11, v3, vcc_lo
	v_add_co_u32 v2, vcc_lo, s22, v2
	s_wait_alu 0xfffd
	v_add_co_ci_u32_e64 v3, null, s23, v3, vcc_lo
	global_load_b32 v10, v[10:11], off
	global_load_b32 v11, v[2:3], off
	v_mad_co_u64_u32 v[2:3], null, v4, s14, 0
	v_add3_u32 v15, v15, v20, v19
	s_wait_alu 0xfffe
	s_ashr_i32 s3, s2, 31
	s_wait_alu 0xfffe
	s_lshl_b64 s[2:3], s[2:3], 2
	s_delay_alu instid0(VALU_DEP_2) | instskip(SKIP_4) | instid1(VALU_DEP_3)
	v_add3_u32 v3, v3, v17, v18
	v_sub_co_u32 v17, vcc_lo, v8, v12
	s_wait_alu 0xfffd
	v_sub_co_ci_u32_e64 v18, null, v9, v13, vcc_lo
	v_lshlrev_b64_e32 v[8:9], 2, v[14:15]
	v_mul_lo_u32 v14, v17, s5
	v_mad_co_u64_u32 v[12:13], null, v17, s4, v[6:7]
	s_delay_alu instid0(VALU_DEP_4) | instskip(SKIP_2) | instid1(VALU_DEP_3)
	v_mul_lo_u32 v15, v18, s4
	v_lshlrev_b64_e32 v[2:3], 2, v[2:3]
	s_mov_b32 s4, 0
	v_mul_lo_u32 v20, v12, s9
	s_delay_alu instid0(VALU_DEP_2) | instskip(NEXT) | instid1(VALU_DEP_4)
	v_add_co_u32 v2, vcc_lo, s24, v2
	v_add3_u32 v13, v15, v13, v14
	s_wait_alu 0xfffd
	v_add_co_ci_u32_e64 v3, null, s25, v3, vcc_lo
	s_delay_alu instid0(VALU_DEP_3) | instskip(NEXT) | instid1(VALU_DEP_3)
	v_add_co_u32 v6, vcc_lo, v2, v8
	v_mul_lo_u32 v19, v13, s8
	v_mad_co_u64_u32 v[13:14], null, v4, s16, 0
	s_wait_alu 0xfffd
	v_add_co_ci_u32_e64 v7, null, v3, v9, vcc_lo
	v_mul_lo_u32 v9, s8, v5
	v_mov_b32_e32 v8, 0
	v_mad_co_u64_u32 v[15:16], null, v12, s8, 0
	v_add3_u32 v14, v14, v21, v22
	v_mul_lo_u32 v21, v18, s8
	v_mul_lo_u32 v22, v17, s9
	v_mad_co_u64_u32 v[17:18], null, v17, s8, 0
	v_ashrrev_i64 v[8:9], 30, v[8:9]
	v_add_co_u32 v2, vcc_lo, v6, s0
	v_lshlrev_b64_e32 v[12:13], 2, v[13:14]
	v_add3_u32 v16, v16, v20, v19
	s_wait_alu 0xfffd
	v_add_co_ci_u32_e64 v3, null, s1, v7, vcc_lo
	v_add_co_u32 v4, vcc_lo, v6, v0
	v_add3_u32 v18, v18, v22, v21
	s_wait_alu 0xfffd
	v_add_co_ci_u32_e64 v5, null, v7, v1, vcc_lo
	v_add_co_u32 v14, vcc_lo, s20, v8
	s_wait_alu 0xfffd
	v_add_co_ci_u32_e64 v19, null, s21, v9, vcc_lo
	v_lshlrev_b64_e32 v[8:9], 2, v[15:16]
	v_add_co_u32 v15, vcc_lo, s26, v12
	s_wait_alu 0xfffd
	v_add_co_ci_u32_e64 v16, null, s27, v13, vcc_lo
	v_lshlrev_b64_e32 v[12:13], 2, v[17:18]
	s_delay_alu instid0(VALU_DEP_4) | instskip(SKIP_2) | instid1(VALU_DEP_3)
	v_add_co_u32 v8, vcc_lo, v14, v8
	s_wait_alu 0xfffd
	v_add_co_ci_u32_e64 v9, null, v19, v9, vcc_lo
	v_add_co_u32 v12, vcc_lo, v15, v12
	s_wait_alu 0xfffd
	v_add_co_ci_u32_e64 v13, null, v16, v13, vcc_lo
	s_wait_loadcnt 0x1
	v_cmp_neq_f32_e64 s0, 0, v10
	s_branch .LBB38_12
.LBB38_11:                              ;   in Loop: Header=BB38_12 Depth=1
	s_wait_alu 0xfffe
	s_or_b32 exec_lo, exec_lo, s1
	v_add_co_u32 v4, vcc_lo, v4, s2
	s_wait_alu 0xfffd
	v_add_co_ci_u32_e64 v5, null, s3, v5, vcc_lo
	v_add_co_u32 v15, vcc_lo, v8, v0
	s_wait_alu 0xfffd
	v_add_co_ci_u32_e64 v16, null, v9, v1, vcc_lo
	s_delay_alu instid0(VALU_DEP_3)
	v_cmp_ge_u64_e32 vcc_lo, v[4:5], v[2:3]
	v_add_co_u32 v0, s1, v0, s2
	s_wait_alu 0xf1ff
	v_add_co_ci_u32_e64 v1, null, s3, v1, s1
	global_store_b32 v[15:16], v14, off
	s_or_b32 s4, vcc_lo, s4
	s_wait_alu 0xfffe
	s_and_not1_b32 exec_lo, exec_lo, s4
	s_cbranch_execz .LBB38_14
.LBB38_12:                              ; =>This Inner Loop Header: Depth=1
	v_mov_b32_e32 v14, 0
	s_delay_alu instid0(VALU_DEP_2)
	s_and_saveexec_b32 s1, s0
	s_cbranch_execz .LBB38_11
; %bb.13:                               ;   in Loop: Header=BB38_12 Depth=1
	v_add_co_u32 v14, vcc_lo, v6, v0
	s_wait_alu 0xfffd
	v_add_co_ci_u32_e64 v15, null, v7, v1, vcc_lo
	v_add_co_u32 v16, vcc_lo, v12, v0
	s_wait_alu 0xfffd
	v_add_co_ci_u32_e64 v17, null, v13, v1, vcc_lo
	global_load_b32 v14, v[14:15], off
	global_load_b32 v15, v[16:17], off
	s_wait_loadcnt 0x0
	v_sub_f32_e32 v14, v14, v15
	s_delay_alu instid0(VALU_DEP_1) | instskip(NEXT) | instid1(VALU_DEP_1)
	v_mul_f32_e32 v14, v11, v14
	v_div_scale_f32 v15, null, v10, v10, v14
	s_delay_alu instid0(VALU_DEP_1) | instskip(NEXT) | instid1(TRANS32_DEP_1)
	v_rcp_f32_e32 v16, v15
	v_fma_f32 v17, -v15, v16, 1.0
	s_delay_alu instid0(VALU_DEP_1) | instskip(SKIP_1) | instid1(VALU_DEP_1)
	v_fmac_f32_e32 v16, v17, v16
	v_div_scale_f32 v17, vcc_lo, v14, v10, v14
	v_mul_f32_e32 v18, v17, v16
	s_delay_alu instid0(VALU_DEP_1) | instskip(NEXT) | instid1(VALU_DEP_1)
	v_fma_f32 v19, -v15, v18, v17
	v_fmac_f32_e32 v18, v19, v16
	s_delay_alu instid0(VALU_DEP_1) | instskip(SKIP_1) | instid1(VALU_DEP_1)
	v_fma_f32 v15, -v15, v18, v17
	s_wait_alu 0xfffd
	v_div_fmas_f32 v15, v15, v16, v18
	s_delay_alu instid0(VALU_DEP_1)
	v_div_fixup_f32 v14, v15, v10, v14
	s_branch .LBB38_11
.LBB38_14:
	s_endpgm
	.section	.rodata,"a",@progbits
	.p2align	6, 0x0
	.amdhsa_kernel _ZN2at6native12_GLOBAL__N_131cdist_backward_kernel_cuda_implIfNS1_5distsIfE3twoEEEvPT_PKS6_S9_S9_S9_S6_lllllll
		.amdhsa_group_segment_fixed_size 0
		.amdhsa_private_segment_fixed_size 0
		.amdhsa_kernarg_size 360
		.amdhsa_user_sgpr_count 2
		.amdhsa_user_sgpr_dispatch_ptr 0
		.amdhsa_user_sgpr_queue_ptr 0
		.amdhsa_user_sgpr_kernarg_segment_ptr 1
		.amdhsa_user_sgpr_dispatch_id 0
		.amdhsa_user_sgpr_private_segment_size 0
		.amdhsa_wavefront_size32 1
		.amdhsa_uses_dynamic_stack 0
		.amdhsa_enable_private_segment 0
		.amdhsa_system_sgpr_workgroup_id_x 1
		.amdhsa_system_sgpr_workgroup_id_y 1
		.amdhsa_system_sgpr_workgroup_id_z 1
		.amdhsa_system_sgpr_workgroup_info 0
		.amdhsa_system_vgpr_workitem_id 1
		.amdhsa_next_free_vgpr 23
		.amdhsa_next_free_sgpr 32
		.amdhsa_reserve_vcc 1
		.amdhsa_float_round_mode_32 0
		.amdhsa_float_round_mode_16_64 0
		.amdhsa_float_denorm_mode_32 3
		.amdhsa_float_denorm_mode_16_64 3
		.amdhsa_fp16_overflow 0
		.amdhsa_workgroup_processor_mode 1
		.amdhsa_memory_ordered 1
		.amdhsa_forward_progress 1
		.amdhsa_inst_pref_size 24
		.amdhsa_round_robin_scheduling 0
		.amdhsa_exception_fp_ieee_invalid_op 0
		.amdhsa_exception_fp_denorm_src 0
		.amdhsa_exception_fp_ieee_div_zero 0
		.amdhsa_exception_fp_ieee_overflow 0
		.amdhsa_exception_fp_ieee_underflow 0
		.amdhsa_exception_fp_ieee_inexact 0
		.amdhsa_exception_int_div_zero 0
	.end_amdhsa_kernel
	.section	.text._ZN2at6native12_GLOBAL__N_131cdist_backward_kernel_cuda_implIfNS1_5distsIfE3twoEEEvPT_PKS6_S9_S9_S9_S6_lllllll,"axG",@progbits,_ZN2at6native12_GLOBAL__N_131cdist_backward_kernel_cuda_implIfNS1_5distsIfE3twoEEEvPT_PKS6_S9_S9_S9_S6_lllllll,comdat
.Lfunc_end38:
	.size	_ZN2at6native12_GLOBAL__N_131cdist_backward_kernel_cuda_implIfNS1_5distsIfE3twoEEEvPT_PKS6_S9_S9_S9_S6_lllllll, .Lfunc_end38-_ZN2at6native12_GLOBAL__N_131cdist_backward_kernel_cuda_implIfNS1_5distsIfE3twoEEEvPT_PKS6_S9_S9_S9_S6_lllllll
                                        ; -- End function
	.set _ZN2at6native12_GLOBAL__N_131cdist_backward_kernel_cuda_implIfNS1_5distsIfE3twoEEEvPT_PKS6_S9_S9_S9_S6_lllllll.num_vgpr, 23
	.set _ZN2at6native12_GLOBAL__N_131cdist_backward_kernel_cuda_implIfNS1_5distsIfE3twoEEEvPT_PKS6_S9_S9_S9_S6_lllllll.num_agpr, 0
	.set _ZN2at6native12_GLOBAL__N_131cdist_backward_kernel_cuda_implIfNS1_5distsIfE3twoEEEvPT_PKS6_S9_S9_S9_S6_lllllll.numbered_sgpr, 32
	.set _ZN2at6native12_GLOBAL__N_131cdist_backward_kernel_cuda_implIfNS1_5distsIfE3twoEEEvPT_PKS6_S9_S9_S9_S6_lllllll.num_named_barrier, 0
	.set _ZN2at6native12_GLOBAL__N_131cdist_backward_kernel_cuda_implIfNS1_5distsIfE3twoEEEvPT_PKS6_S9_S9_S9_S6_lllllll.private_seg_size, 0
	.set _ZN2at6native12_GLOBAL__N_131cdist_backward_kernel_cuda_implIfNS1_5distsIfE3twoEEEvPT_PKS6_S9_S9_S9_S6_lllllll.uses_vcc, 1
	.set _ZN2at6native12_GLOBAL__N_131cdist_backward_kernel_cuda_implIfNS1_5distsIfE3twoEEEvPT_PKS6_S9_S9_S9_S6_lllllll.uses_flat_scratch, 0
	.set _ZN2at6native12_GLOBAL__N_131cdist_backward_kernel_cuda_implIfNS1_5distsIfE3twoEEEvPT_PKS6_S9_S9_S9_S6_lllllll.has_dyn_sized_stack, 0
	.set _ZN2at6native12_GLOBAL__N_131cdist_backward_kernel_cuda_implIfNS1_5distsIfE3twoEEEvPT_PKS6_S9_S9_S9_S6_lllllll.has_recursion, 0
	.set _ZN2at6native12_GLOBAL__N_131cdist_backward_kernel_cuda_implIfNS1_5distsIfE3twoEEEvPT_PKS6_S9_S9_S9_S6_lllllll.has_indirect_call, 0
	.section	.AMDGPU.csdata,"",@progbits
; Kernel info:
; codeLenInByte = 3040
; TotalNumSgprs: 34
; NumVgprs: 23
; ScratchSize: 0
; MemoryBound: 0
; FloatMode: 240
; IeeeMode: 1
; LDSByteSize: 0 bytes/workgroup (compile time only)
; SGPRBlocks: 0
; VGPRBlocks: 2
; NumSGPRsForWavesPerEU: 34
; NumVGPRsForWavesPerEU: 23
; Occupancy: 16
; WaveLimiterHint : 0
; COMPUTE_PGM_RSRC2:SCRATCH_EN: 0
; COMPUTE_PGM_RSRC2:USER_SGPR: 2
; COMPUTE_PGM_RSRC2:TRAP_HANDLER: 0
; COMPUTE_PGM_RSRC2:TGID_X_EN: 1
; COMPUTE_PGM_RSRC2:TGID_Y_EN: 1
; COMPUTE_PGM_RSRC2:TGID_Z_EN: 1
; COMPUTE_PGM_RSRC2:TIDIG_COMP_CNT: 1
	.section	.text._ZN2at6native12_GLOBAL__N_131cdist_backward_kernel_cuda_implIfNS1_5distsIfE3infEEEvPT_PKS6_S9_S9_S9_S6_lllllll,"axG",@progbits,_ZN2at6native12_GLOBAL__N_131cdist_backward_kernel_cuda_implIfNS1_5distsIfE3infEEEvPT_PKS6_S9_S9_S9_S6_lllllll,comdat
	.globl	_ZN2at6native12_GLOBAL__N_131cdist_backward_kernel_cuda_implIfNS1_5distsIfE3infEEEvPT_PKS6_S9_S9_S9_S6_lllllll ; -- Begin function _ZN2at6native12_GLOBAL__N_131cdist_backward_kernel_cuda_implIfNS1_5distsIfE3infEEEvPT_PKS6_S9_S9_S9_S6_lllllll
	.p2align	8
	.type	_ZN2at6native12_GLOBAL__N_131cdist_backward_kernel_cuda_implIfNS1_5distsIfE3infEEEvPT_PKS6_S9_S9_S9_S6_lllllll,@function
_ZN2at6native12_GLOBAL__N_131cdist_backward_kernel_cuda_implIfNS1_5distsIfE3infEEEvPT_PKS6_S9_S9_S9_S6_lllllll: ; @_ZN2at6native12_GLOBAL__N_131cdist_backward_kernel_cuda_implIfNS1_5distsIfE3infEEEvPT_PKS6_S9_S9_S9_S6_lllllll
; %bb.0:
	s_clause 0x1
	s_load_b64 s[2:3], s[0:1], 0x70
	s_load_b256 s[4:11], s[0:1], 0x30
	s_and_b32 s12, ttmp7, 0xffff
	v_bfe_u32 v1, v0, 10, 10
	s_lshr_b32 s13, ttmp7, 16
	s_wait_kmcnt 0x0
	s_mul_i32 s2, s2, s12
	s_lshr_b32 s12, s3, 16
	s_add_co_i32 s2, s2, s13
	s_delay_alu instid0(SALU_CYCLE_1) | instskip(SKIP_2) | instid1(VALU_DEP_1)
	v_mad_co_u64_u32 v[2:3], null, s2, s12, v[1:2]
	s_mov_b32 s2, exec_lo
	v_ashrrev_i32_e32 v3, 31, v2
	v_cmpx_gt_i64_e64 s[10:11], v[2:3]
	s_cbranch_execz .LBB39_12
; %bb.1:
	v_and_b32_e32 v0, 0x3ff, v0
	s_and_b32 s3, s3, 0xffff
	s_load_b256 s[12:19], s[0:1], 0x50
	s_delay_alu instid0(VALU_DEP_1) | instskip(NEXT) | instid1(VALU_DEP_1)
	v_mad_co_u64_u32 v[0:1], null, ttmp9, s3, v[0:1]
	v_ashrrev_i32_e32 v1, 31, v0
	s_delay_alu instid0(VALU_DEP_1)
	v_cmp_gt_i64_e32 vcc_lo, s[8:9], v[0:1]
	s_and_b32 exec_lo, exec_lo, vcc_lo
	s_cbranch_execz .LBB39_12
; %bb.2:
	s_wait_kmcnt 0x0
	v_or_b32_e32 v5, s13, v3
	v_mov_b32_e32 v4, 0
	s_delay_alu instid0(VALU_DEP_1)
	v_cmp_ne_u64_e32 vcc_lo, 0, v[4:5]
                                        ; implicit-def: $vgpr4_vgpr5
	s_and_saveexec_b32 s2, vcc_lo
	s_wait_alu 0xfffe
	s_xor_b32 s20, exec_lo, s2
	s_cbranch_execz .LBB39_4
; %bb.3:
	s_ashr_i32 s10, s13, 31
	s_mov_b32 s29, 0
	s_wait_alu 0xfffe
	s_mov_b32 s11, s10
	v_ashrrev_i32_e32 v10, 31, v3
	s_wait_alu 0xfffe
	s_add_nc_u64 s[18:19], s[12:13], s[10:11]
	s_delay_alu instid0(SALU_CYCLE_1) | instskip(NEXT) | instid1(VALU_DEP_1)
	s_xor_b64 s[18:19], s[18:19], s[10:11]
	v_add_co_u32 v4, vcc_lo, v2, v10
	s_cvt_f32_u32 s2, s18
	s_cvt_f32_u32 s11, s19
	s_sub_nc_u64 s[24:25], 0, s[18:19]
	v_add_co_ci_u32_e64 v5, null, v3, v10, vcc_lo
	s_wait_alu 0xfffe
	s_fmamk_f32 s2, s11, 0x4f800000, s2
	v_xor_b32_e32 v11, v4, v10
	s_delay_alu instid0(VALU_DEP_2) | instskip(SKIP_2) | instid1(TRANS32_DEP_1)
	v_xor_b32_e32 v12, v5, v10
	s_wait_alu 0xfffe
	v_s_rcp_f32 s2, s2
	s_mul_f32 s2, s2, 0x5f7ffffc
	s_wait_alu 0xfffe
	s_delay_alu instid0(SALU_CYCLE_2) | instskip(SKIP_1) | instid1(SALU_CYCLE_2)
	s_mul_f32 s11, s2, 0x2f800000
	s_wait_alu 0xfffe
	s_trunc_f32 s11, s11
	s_wait_alu 0xfffe
	s_delay_alu instid0(SALU_CYCLE_2) | instskip(SKIP_2) | instid1(SALU_CYCLE_1)
	s_fmamk_f32 s2, s11, 0xcf800000, s2
	s_cvt_u32_f32 s23, s11
	s_wait_alu 0xfffe
	s_cvt_u32_f32 s22, s2
	s_delay_alu instid0(SALU_CYCLE_3) | instskip(NEXT) | instid1(SALU_CYCLE_1)
	s_mul_u64 s[26:27], s[24:25], s[22:23]
	s_mul_hi_u32 s31, s22, s27
	s_mul_i32 s30, s22, s27
	s_mul_hi_u32 s28, s22, s26
	s_mul_i32 s11, s23, s26
	s_add_nc_u64 s[30:31], s[28:29], s[30:31]
	s_mul_hi_u32 s2, s23, s26
	s_mul_hi_u32 s21, s23, s27
	s_wait_alu 0xfffe
	s_add_co_u32 s11, s30, s11
	s_add_co_ci_u32 s28, s31, s2
	s_mul_i32 s26, s23, s27
	s_add_co_ci_u32 s27, s21, 0
	s_delay_alu instid0(SALU_CYCLE_1) | instskip(NEXT) | instid1(SALU_CYCLE_1)
	s_add_nc_u64 s[26:27], s[28:29], s[26:27]
	s_add_co_u32 s22, s22, s26
	s_cselect_b32 s2, -1, 0
	s_wait_alu 0xfffe
	s_cmp_lg_u32 s2, 0
	s_add_co_ci_u32 s23, s23, s27
	s_delay_alu instid0(SALU_CYCLE_1) | instskip(NEXT) | instid1(SALU_CYCLE_1)
	s_mul_u64 s[24:25], s[24:25], s[22:23]
	s_mul_hi_u32 s27, s22, s25
	s_mul_i32 s26, s22, s25
	s_mul_hi_u32 s28, s22, s24
	s_mul_i32 s11, s23, s24
	s_add_nc_u64 s[26:27], s[28:29], s[26:27]
	s_mul_hi_u32 s2, s23, s24
	s_mul_hi_u32 s21, s23, s25
	s_wait_alu 0xfffe
	s_add_co_u32 s11, s26, s11
	s_add_co_ci_u32 s28, s27, s2
	s_mul_i32 s24, s23, s25
	s_add_co_ci_u32 s25, s21, 0
	s_delay_alu instid0(SALU_CYCLE_1) | instskip(NEXT) | instid1(SALU_CYCLE_1)
	s_add_nc_u64 s[24:25], s[28:29], s[24:25]
	s_add_co_u32 s2, s22, s24
	s_cselect_b32 s11, -1, 0
	s_wait_alu 0xfffe
	v_mul_hi_u32 v13, v11, s2
	s_cmp_lg_u32 s11, 0
	v_mad_co_u64_u32 v[6:7], null, v12, s2, 0
	s_add_co_ci_u32 s11, s23, s25
	s_wait_alu 0xfffe
	v_mad_co_u64_u32 v[4:5], null, v11, s11, 0
	v_mad_co_u64_u32 v[8:9], null, v12, s11, 0
	s_delay_alu instid0(VALU_DEP_2) | instskip(SKIP_1) | instid1(VALU_DEP_3)
	v_add_co_u32 v4, vcc_lo, v13, v4
	s_wait_alu 0xfffd
	v_add_co_ci_u32_e64 v5, null, 0, v5, vcc_lo
	s_delay_alu instid0(VALU_DEP_2) | instskip(SKIP_1) | instid1(VALU_DEP_2)
	v_add_co_u32 v4, vcc_lo, v4, v6
	s_wait_alu 0xfffd
	v_add_co_ci_u32_e32 v4, vcc_lo, v5, v7, vcc_lo
	s_wait_alu 0xfffd
	v_add_co_ci_u32_e32 v5, vcc_lo, 0, v9, vcc_lo
	s_delay_alu instid0(VALU_DEP_2) | instskip(SKIP_1) | instid1(VALU_DEP_2)
	v_add_co_u32 v6, vcc_lo, v4, v8
	s_wait_alu 0xfffd
	v_add_co_ci_u32_e64 v7, null, 0, v5, vcc_lo
	s_delay_alu instid0(VALU_DEP_2) | instskip(SKIP_1) | instid1(VALU_DEP_3)
	v_mul_lo_u32 v8, s19, v6
	v_mad_co_u64_u32 v[4:5], null, s18, v6, 0
	v_mul_lo_u32 v9, s18, v7
	s_delay_alu instid0(VALU_DEP_2) | instskip(NEXT) | instid1(VALU_DEP_2)
	v_sub_co_u32 v4, vcc_lo, v11, v4
	v_add3_u32 v5, v5, v9, v8
	v_add_co_u32 v9, s2, v6, 2
	s_wait_alu 0xf1ff
	v_add_co_ci_u32_e64 v11, null, 0, v7, s2
	s_delay_alu instid0(VALU_DEP_3) | instskip(SKIP_3) | instid1(VALU_DEP_3)
	v_sub_nc_u32_e32 v8, v12, v5
	v_sub_co_u32 v13, s2, v4, s18
	s_wait_alu 0xfffd
	v_sub_co_ci_u32_e64 v5, null, v12, v5, vcc_lo
	v_subrev_co_ci_u32_e64 v8, null, s19, v8, vcc_lo
	s_delay_alu instid0(VALU_DEP_3) | instskip(SKIP_1) | instid1(VALU_DEP_2)
	v_cmp_le_u32_e32 vcc_lo, s18, v13
	s_wait_alu 0xf1ff
	v_subrev_co_ci_u32_e64 v8, null, 0, v8, s2
	s_wait_alu 0xfffd
	v_cndmask_b32_e64 v12, 0, -1, vcc_lo
	s_delay_alu instid0(VALU_DEP_2)
	v_cmp_le_u32_e32 vcc_lo, s19, v8
	s_wait_alu 0xfffd
	v_cndmask_b32_e64 v13, 0, -1, vcc_lo
	v_cmp_le_u32_e32 vcc_lo, s18, v4
	s_wait_alu 0xfffd
	v_cndmask_b32_e64 v4, 0, -1, vcc_lo
	;; [unrolled: 3-line block ×3, first 2 shown]
	v_cmp_eq_u32_e32 vcc_lo, s19, v8
	s_wait_alu 0xfffd
	v_cndmask_b32_e32 v8, v13, v12, vcc_lo
	v_add_co_u32 v12, vcc_lo, v6, 1
	s_wait_alu 0xfffd
	v_add_co_ci_u32_e64 v13, null, 0, v7, vcc_lo
	v_cmp_eq_u32_e32 vcc_lo, s19, v5
	s_wait_alu 0xfffd
	v_cndmask_b32_e32 v4, v14, v4, vcc_lo
	v_cmp_ne_u32_e32 vcc_lo, 0, v8
	v_xor_b32_e32 v8, s10, v10
	s_wait_alu 0xfffd
	v_cndmask_b32_e32 v5, v13, v11, vcc_lo
	v_cmp_ne_u32_e64 s2, 0, v4
	v_cndmask_b32_e32 v4, v12, v9, vcc_lo
	s_wait_alu 0xf1ff
	s_delay_alu instid0(VALU_DEP_2) | instskip(NEXT) | instid1(VALU_DEP_2)
	v_cndmask_b32_e64 v5, v7, v5, s2
	v_cndmask_b32_e64 v4, v6, v4, s2
	s_delay_alu instid0(VALU_DEP_2) | instskip(NEXT) | instid1(VALU_DEP_2)
	v_xor_b32_e32 v5, v5, v8
	v_xor_b32_e32 v4, v4, v8
	s_delay_alu instid0(VALU_DEP_1) | instskip(SKIP_1) | instid1(VALU_DEP_3)
	v_sub_co_u32 v4, vcc_lo, v4, v8
	s_wait_alu 0xfffd
	v_sub_co_ci_u32_e64 v5, null, v5, v8, vcc_lo
.LBB39_4:
	s_and_not1_saveexec_b32 s2, s20
	s_cbranch_execz .LBB39_6
; %bb.5:
	v_cvt_f32_u32_e32 v4, s12
	s_sub_co_i32 s10, 0, s12
	s_delay_alu instid0(VALU_DEP_1) | instskip(NEXT) | instid1(TRANS32_DEP_1)
	v_rcp_iflag_f32_e32 v4, v4
	v_mul_f32_e32 v4, 0x4f7ffffe, v4
	s_delay_alu instid0(VALU_DEP_1) | instskip(SKIP_1) | instid1(VALU_DEP_1)
	v_cvt_u32_f32_e32 v4, v4
	s_wait_alu 0xfffe
	v_mul_lo_u32 v5, s10, v4
	s_delay_alu instid0(VALU_DEP_1) | instskip(NEXT) | instid1(VALU_DEP_1)
	v_mul_hi_u32 v5, v4, v5
	v_add_nc_u32_e32 v4, v4, v5
	s_delay_alu instid0(VALU_DEP_1) | instskip(NEXT) | instid1(VALU_DEP_1)
	v_mul_hi_u32 v4, v2, v4
	v_mul_lo_u32 v5, v4, s12
	v_add_nc_u32_e32 v6, 1, v4
	s_delay_alu instid0(VALU_DEP_2) | instskip(NEXT) | instid1(VALU_DEP_1)
	v_sub_nc_u32_e32 v5, v2, v5
	v_subrev_nc_u32_e32 v7, s12, v5
	v_cmp_le_u32_e32 vcc_lo, s12, v5
	s_wait_alu 0xfffd
	s_delay_alu instid0(VALU_DEP_2) | instskip(NEXT) | instid1(VALU_DEP_1)
	v_dual_cndmask_b32 v5, v5, v7 :: v_dual_cndmask_b32 v4, v4, v6
	v_cmp_le_u32_e32 vcc_lo, s12, v5
	s_delay_alu instid0(VALU_DEP_2) | instskip(SKIP_1) | instid1(VALU_DEP_1)
	v_dual_mov_b32 v5, 0 :: v_dual_add_nc_u32 v6, 1, v4
	s_wait_alu 0xfffd
	v_cndmask_b32_e32 v4, v4, v6, vcc_lo
.LBB39_6:
	s_wait_alu 0xfffe
	s_or_b32 exec_lo, exec_lo, s2
	v_mul_lo_u32 v7, v5, s12
	s_delay_alu instid0(VALU_DEP_2)
	v_mul_lo_u32 v8, v4, s13
	v_mad_co_u64_u32 v[5:6], null, v4, s12, 0
	s_add_nc_u64 s[10:11], s[0:1], 0x68
	v_add3_u32 v6, v6, v8, v7
	v_sub_co_u32 v8, vcc_lo, v2, v5
	s_wait_alu 0xfffd
	s_delay_alu instid0(VALU_DEP_2) | instskip(SKIP_1) | instid1(VALU_DEP_2)
	v_sub_co_ci_u32_e64 v9, null, v3, v6, vcc_lo
	v_mov_b32_e32 v6, 0
	v_or_b32_e32 v7, s7, v9
	s_delay_alu instid0(VALU_DEP_1)
	v_cmp_ne_u64_e32 vcc_lo, 0, v[6:7]
                                        ; implicit-def: $vgpr6_vgpr7
	s_and_saveexec_b32 s2, vcc_lo
	s_wait_alu 0xfffe
	s_xor_b32 s20, exec_lo, s2
	s_cbranch_execz .LBB39_8
; %bb.7:
	s_ashr_i32 s12, s7, 31
	s_mov_b32 s29, 0
	s_wait_alu 0xfffe
	s_mov_b32 s13, s12
	v_ashrrev_i32_e32 v14, 31, v9
	s_wait_alu 0xfffe
	s_add_nc_u64 s[18:19], s[6:7], s[12:13]
	s_wait_alu 0xfffe
	s_xor_b64 s[18:19], s[18:19], s[12:13]
	v_add_co_u32 v6, vcc_lo, v8, v14
	s_wait_alu 0xfffe
	s_cvt_f32_u32 s2, s18
	s_cvt_f32_u32 s13, s19
	s_sub_nc_u64 s[24:25], 0, s[18:19]
	s_wait_alu 0xfffd
	v_add_co_ci_u32_e64 v7, null, v9, v14, vcc_lo
	s_wait_alu 0xfffe
	s_fmamk_f32 s2, s13, 0x4f800000, s2
	v_xor_b32_e32 v15, v6, v14
	s_delay_alu instid0(VALU_DEP_2) | instskip(SKIP_2) | instid1(TRANS32_DEP_1)
	v_xor_b32_e32 v16, v7, v14
	s_wait_alu 0xfffe
	v_s_rcp_f32 s2, s2
	s_mul_f32 s2, s2, 0x5f7ffffc
	s_wait_alu 0xfffe
	s_delay_alu instid0(SALU_CYCLE_2) | instskip(SKIP_1) | instid1(SALU_CYCLE_2)
	s_mul_f32 s13, s2, 0x2f800000
	s_wait_alu 0xfffe
	s_trunc_f32 s13, s13
	s_wait_alu 0xfffe
	s_delay_alu instid0(SALU_CYCLE_2) | instskip(SKIP_2) | instid1(SALU_CYCLE_1)
	s_fmamk_f32 s2, s13, 0xcf800000, s2
	s_cvt_u32_f32 s23, s13
	s_wait_alu 0xfffe
	s_cvt_u32_f32 s22, s2
	s_delay_alu instid0(SALU_CYCLE_3) | instskip(NEXT) | instid1(SALU_CYCLE_1)
	s_mul_u64 s[26:27], s[24:25], s[22:23]
	s_mul_hi_u32 s31, s22, s27
	s_mul_i32 s30, s22, s27
	s_mul_hi_u32 s28, s22, s26
	s_mul_i32 s13, s23, s26
	s_add_nc_u64 s[30:31], s[28:29], s[30:31]
	s_mul_hi_u32 s2, s23, s26
	s_mul_hi_u32 s21, s23, s27
	s_wait_alu 0xfffe
	s_add_co_u32 s13, s30, s13
	s_add_co_ci_u32 s28, s31, s2
	s_mul_i32 s26, s23, s27
	s_add_co_ci_u32 s27, s21, 0
	s_delay_alu instid0(SALU_CYCLE_1) | instskip(NEXT) | instid1(SALU_CYCLE_1)
	s_add_nc_u64 s[26:27], s[28:29], s[26:27]
	s_add_co_u32 s22, s22, s26
	s_cselect_b32 s2, -1, 0
	s_wait_alu 0xfffe
	s_cmp_lg_u32 s2, 0
	s_add_co_ci_u32 s23, s23, s27
	s_delay_alu instid0(SALU_CYCLE_1) | instskip(NEXT) | instid1(SALU_CYCLE_1)
	s_mul_u64 s[24:25], s[24:25], s[22:23]
	s_mul_hi_u32 s27, s22, s25
	s_mul_i32 s26, s22, s25
	s_mul_hi_u32 s28, s22, s24
	s_mul_i32 s13, s23, s24
	s_add_nc_u64 s[26:27], s[28:29], s[26:27]
	s_mul_hi_u32 s2, s23, s24
	s_mul_hi_u32 s21, s23, s25
	s_wait_alu 0xfffe
	s_add_co_u32 s13, s26, s13
	s_add_co_ci_u32 s28, s27, s2
	s_mul_i32 s24, s23, s25
	s_add_co_ci_u32 s25, s21, 0
	s_delay_alu instid0(SALU_CYCLE_1) | instskip(NEXT) | instid1(SALU_CYCLE_1)
	s_add_nc_u64 s[24:25], s[28:29], s[24:25]
	s_add_co_u32 s2, s22, s24
	s_cselect_b32 s13, -1, 0
	s_wait_alu 0xfffe
	v_mul_hi_u32 v17, v15, s2
	s_cmp_lg_u32 s13, 0
	v_mad_co_u64_u32 v[10:11], null, v16, s2, 0
	s_add_co_ci_u32 s13, s23, s25
	s_wait_alu 0xfffe
	v_mad_co_u64_u32 v[6:7], null, v15, s13, 0
	v_mad_co_u64_u32 v[12:13], null, v16, s13, 0
	s_delay_alu instid0(VALU_DEP_2) | instskip(SKIP_1) | instid1(VALU_DEP_3)
	v_add_co_u32 v6, vcc_lo, v17, v6
	s_wait_alu 0xfffd
	v_add_co_ci_u32_e64 v7, null, 0, v7, vcc_lo
	s_delay_alu instid0(VALU_DEP_2) | instskip(SKIP_1) | instid1(VALU_DEP_2)
	v_add_co_u32 v6, vcc_lo, v6, v10
	s_wait_alu 0xfffd
	v_add_co_ci_u32_e32 v6, vcc_lo, v7, v11, vcc_lo
	s_wait_alu 0xfffd
	v_add_co_ci_u32_e32 v7, vcc_lo, 0, v13, vcc_lo
	s_delay_alu instid0(VALU_DEP_2) | instskip(SKIP_1) | instid1(VALU_DEP_2)
	v_add_co_u32 v10, vcc_lo, v6, v12
	s_wait_alu 0xfffd
	v_add_co_ci_u32_e64 v11, null, 0, v7, vcc_lo
	s_delay_alu instid0(VALU_DEP_2) | instskip(SKIP_1) | instid1(VALU_DEP_3)
	v_mul_lo_u32 v12, s19, v10
	v_mad_co_u64_u32 v[6:7], null, s18, v10, 0
	v_mul_lo_u32 v13, s18, v11
	s_delay_alu instid0(VALU_DEP_2) | instskip(NEXT) | instid1(VALU_DEP_2)
	v_sub_co_u32 v6, vcc_lo, v15, v6
	v_add3_u32 v7, v7, v13, v12
	v_add_co_u32 v13, s2, v10, 2
	s_wait_alu 0xf1ff
	v_add_co_ci_u32_e64 v15, null, 0, v11, s2
	s_delay_alu instid0(VALU_DEP_3) | instskip(SKIP_3) | instid1(VALU_DEP_3)
	v_sub_nc_u32_e32 v12, v16, v7
	v_sub_co_u32 v17, s2, v6, s18
	s_wait_alu 0xfffd
	v_sub_co_ci_u32_e64 v7, null, v16, v7, vcc_lo
	v_subrev_co_ci_u32_e64 v12, null, s19, v12, vcc_lo
	s_delay_alu instid0(VALU_DEP_3) | instskip(SKIP_1) | instid1(VALU_DEP_2)
	v_cmp_le_u32_e32 vcc_lo, s18, v17
	s_wait_alu 0xf1ff
	v_subrev_co_ci_u32_e64 v12, null, 0, v12, s2
	s_wait_alu 0xfffd
	v_cndmask_b32_e64 v16, 0, -1, vcc_lo
	s_delay_alu instid0(VALU_DEP_2)
	v_cmp_le_u32_e32 vcc_lo, s19, v12
	s_wait_alu 0xfffd
	v_cndmask_b32_e64 v17, 0, -1, vcc_lo
	v_cmp_le_u32_e32 vcc_lo, s18, v6
	s_wait_alu 0xfffd
	v_cndmask_b32_e64 v6, 0, -1, vcc_lo
	;; [unrolled: 3-line block ×3, first 2 shown]
	v_cmp_eq_u32_e32 vcc_lo, s19, v12
	s_wait_alu 0xfffd
	v_cndmask_b32_e32 v12, v17, v16, vcc_lo
	v_add_co_u32 v16, vcc_lo, v10, 1
	s_wait_alu 0xfffd
	v_add_co_ci_u32_e64 v17, null, 0, v11, vcc_lo
	v_cmp_eq_u32_e32 vcc_lo, s19, v7
	s_wait_alu 0xfffd
	v_cndmask_b32_e32 v6, v18, v6, vcc_lo
	v_cmp_ne_u32_e32 vcc_lo, 0, v12
	v_xor_b32_e32 v12, s12, v14
	s_wait_alu 0xfffd
	v_cndmask_b32_e32 v7, v17, v15, vcc_lo
	v_cmp_ne_u32_e64 s2, 0, v6
	v_cndmask_b32_e32 v6, v16, v13, vcc_lo
	s_wait_alu 0xf1ff
	s_delay_alu instid0(VALU_DEP_2) | instskip(NEXT) | instid1(VALU_DEP_2)
	v_cndmask_b32_e64 v7, v11, v7, s2
	v_cndmask_b32_e64 v6, v10, v6, s2
	s_delay_alu instid0(VALU_DEP_2) | instskip(NEXT) | instid1(VALU_DEP_2)
	v_xor_b32_e32 v7, v7, v12
	v_xor_b32_e32 v6, v6, v12
	s_delay_alu instid0(VALU_DEP_1) | instskip(SKIP_1) | instid1(VALU_DEP_3)
	v_sub_co_u32 v6, vcc_lo, v6, v12
	s_wait_alu 0xfffd
	v_sub_co_ci_u32_e64 v7, null, v7, v12, vcc_lo
.LBB39_8:
	s_or_saveexec_b32 s12, s20
	s_load_b32 s2, s[10:11], 0x0
	s_xor_b32 exec_lo, exec_lo, s12
	s_cbranch_execz .LBB39_10
; %bb.9:
	v_cvt_f32_u32_e32 v6, s6
	s_sub_co_i32 s10, 0, s6
	s_delay_alu instid0(VALU_DEP_1) | instskip(NEXT) | instid1(TRANS32_DEP_1)
	v_rcp_iflag_f32_e32 v6, v6
	v_mul_f32_e32 v6, 0x4f7ffffe, v6
	s_delay_alu instid0(VALU_DEP_1) | instskip(SKIP_1) | instid1(VALU_DEP_1)
	v_cvt_u32_f32_e32 v6, v6
	s_wait_alu 0xfffe
	v_mul_lo_u32 v7, s10, v6
	s_delay_alu instid0(VALU_DEP_1) | instskip(NEXT) | instid1(VALU_DEP_1)
	v_mul_hi_u32 v7, v6, v7
	v_add_nc_u32_e32 v6, v6, v7
	s_delay_alu instid0(VALU_DEP_1) | instskip(NEXT) | instid1(VALU_DEP_1)
	v_mul_hi_u32 v6, v8, v6
	v_mul_lo_u32 v7, v6, s6
	v_add_nc_u32_e32 v10, 1, v6
	s_delay_alu instid0(VALU_DEP_2) | instskip(NEXT) | instid1(VALU_DEP_1)
	v_sub_nc_u32_e32 v7, v8, v7
	v_subrev_nc_u32_e32 v11, s6, v7
	v_cmp_le_u32_e32 vcc_lo, s6, v7
	s_wait_alu 0xfffd
	s_delay_alu instid0(VALU_DEP_2) | instskip(NEXT) | instid1(VALU_DEP_1)
	v_dual_cndmask_b32 v7, v7, v11 :: v_dual_cndmask_b32 v6, v6, v10
	v_cmp_le_u32_e32 vcc_lo, s6, v7
	s_delay_alu instid0(VALU_DEP_2) | instskip(SKIP_1) | instid1(VALU_DEP_1)
	v_dual_mov_b32 v7, 0 :: v_dual_add_nc_u32 v10, 1, v6
	s_wait_alu 0xfffd
	v_cndmask_b32_e32 v6, v6, v10, vcc_lo
.LBB39_10:
	s_or_b32 exec_lo, exec_lo, s12
	s_clause 0x1
	s_load_b256 s[20:27], s[0:1], 0x0
	s_load_b64 s[0:1], s[0:1], 0x20
	v_lshlrev_b64_e32 v[2:3], 2, v[2:3]
	v_ashrrev_i32_e32 v16, 31, v4
	v_mul_lo_u32 v21, v7, s6
	v_mul_lo_u32 v22, v6, s7
	v_mad_co_u64_u32 v[12:13], null, v6, s6, 0
	v_mul_lo_u32 v17, v4, s15
	v_mul_lo_u32 v18, v16, s14
	;; [unrolled: 1-line block ×4, first 2 shown]
	v_mad_co_u64_u32 v[14:15], null, v6, s8, 0
	v_add3_u32 v13, v13, v22, v21
	v_mul_lo_u32 v21, v4, s17
	v_mul_lo_u32 v22, v16, s16
	v_lshlrev_b64_e32 v[0:1], 2, v[0:1]
	s_wait_kmcnt 0x0
	s_mul_i32 s2, s2, s3
	v_add3_u32 v15, v15, v20, v19
	v_add_co_u32 v10, vcc_lo, s22, v2
	s_wait_alu 0xfffd
	v_add_co_ci_u32_e64 v11, null, s23, v3, vcc_lo
	v_add_co_u32 v2, vcc_lo, s0, v2
	s_wait_alu 0xfffd
	v_add_co_ci_u32_e64 v3, null, s1, v3, vcc_lo
	global_load_b32 v10, v[10:11], off
	global_load_b32 v11, v[2:3], off
	v_mad_co_u64_u32 v[2:3], null, v4, s14, 0
	s_lshl_b64 s[0:1], s[8:9], 2
	s_wait_alu 0xfffe
	s_ashr_i32 s3, s2, 31
	s_wait_alu 0xfffe
	s_lshl_b64 s[2:3], s[2:3], 2
	v_add3_u32 v3, v3, v17, v18
	v_sub_co_u32 v18, vcc_lo, v8, v12
	s_wait_alu 0xfffd
	v_sub_co_ci_u32_e64 v19, null, v9, v13, vcc_lo
	s_delay_alu instid0(VALU_DEP_3) | instskip(SKIP_2) | instid1(VALU_DEP_4)
	v_lshlrev_b64_e32 v[2:3], 2, v[2:3]
	v_lshlrev_b64_e32 v[8:9], 2, v[14:15]
	v_mul_lo_u32 v14, v18, s5
	v_mul_lo_u32 v15, v19, s4
	v_mad_co_u64_u32 v[12:13], null, v18, s4, v[6:7]
	v_add_co_u32 v2, vcc_lo, s24, v2
	s_wait_alu 0xfffd
	v_add_co_ci_u32_e64 v3, null, s25, v3, vcc_lo
	v_mad_co_u64_u32 v[16:17], null, v4, s16, 0
	s_delay_alu instid0(VALU_DEP_4)
	v_add3_u32 v6, v15, v13, v14
	v_add_co_u32 v7, vcc_lo, v2, v8
	s_wait_alu 0xfffd
	v_add_co_ci_u32_e64 v8, null, v3, v9, vcc_lo
	v_mul_lo_u32 v13, s8, v5
	v_mul_lo_u32 v9, v6, s8
	;; [unrolled: 1-line block ×3, first 2 shown]
	v_mad_co_u64_u32 v[14:15], null, v12, s8, 0
	v_mov_b32_e32 v12, 0
	v_mul_lo_u32 v4, v19, s8
	v_add_co_u32 v2, vcc_lo, v7, s0
	v_add3_u32 v17, v17, v21, v22
	s_delay_alu instid0(VALU_DEP_4)
	v_ashrrev_i64 v[12:13], 30, v[12:13]
	v_add3_u32 v15, v15, v20, v9
	v_mul_lo_u32 v9, v18, s9
	v_mad_co_u64_u32 v[18:19], null, v18, s8, 0
	s_wait_alu 0xfffd
	v_add_co_ci_u32_e64 v3, null, s1, v8, vcc_lo
	v_add_co_u32 v5, vcc_lo, v7, v0
	v_lshlrev_b64_e32 v[14:15], 2, v[14:15]
	s_wait_alu 0xfffd
	v_add_co_ci_u32_e64 v6, null, v8, v1, vcc_lo
	v_add_co_u32 v20, vcc_lo, s20, v12
	s_wait_alu 0xfffd
	v_add_co_ci_u32_e64 v21, null, s21, v13, vcc_lo
	v_lshlrev_b64_e32 v[12:13], 2, v[16:17]
	v_add3_u32 v19, v19, v9, v4
	v_add_co_u32 v4, vcc_lo, v20, v14
	s_wait_alu 0xfffd
	v_add_co_ci_u32_e64 v9, null, v21, v15, vcc_lo
	s_delay_alu instid0(VALU_DEP_3)
	v_lshlrev_b64_e32 v[14:15], 2, v[18:19]
	v_add_co_u32 v12, vcc_lo, s26, v12
	s_wait_alu 0xfffd
	v_add_co_ci_u32_e64 v13, null, s27, v13, vcc_lo
	s_mov_b32 s1, 0
	v_add_co_u32 v12, vcc_lo, v12, v14
	s_wait_alu 0xfffd
	v_add_co_ci_u32_e64 v13, null, v13, v15, vcc_lo
.LBB39_11:                              ; =>This Inner Loop Header: Depth=1
	v_add_co_u32 v14, vcc_lo, v7, v0
	s_wait_alu 0xfffd
	v_add_co_ci_u32_e64 v15, null, v8, v1, vcc_lo
	v_add_co_u32 v16, vcc_lo, v12, v0
	s_wait_alu 0xfffd
	v_add_co_ci_u32_e64 v17, null, v13, v1, vcc_lo
	global_load_b32 v14, v[14:15], off
	global_load_b32 v15, v[16:17], off
	s_wait_loadcnt 0x0
	v_sub_f32_e32 v16, v14, v15
	s_delay_alu instid0(VALU_DEP_1)
	v_cmp_lt_f32_e32 vcc_lo, 0, v16
	v_cmp_gt_f32_e64 s0, 0, v16
	s_wait_alu 0xfffd
	v_cndmask_b32_e64 v15, 0, 1, vcc_lo
	v_add_co_u32 v14, vcc_lo, v4, v0
	s_wait_alu 0xf1ff
	s_delay_alu instid0(VALU_DEP_2)
	v_subrev_co_ci_u32_e64 v17, null, 0, v15, s0
	s_wait_alu 0xfffd
	v_add_co_ci_u32_e64 v15, null, v9, v1, vcc_lo
	s_wait_alu 0xfffe
	v_add_co_u32 v5, vcc_lo, v5, s2
	v_cvt_f32_i32_e32 v17, v17
	v_cmp_eq_f32_e64 s0, |v16|, v11
	s_wait_alu 0xfffd
	v_add_co_ci_u32_e64 v6, null, s3, v6, vcc_lo
	s_delay_alu instid0(VALU_DEP_3) | instskip(SKIP_2) | instid1(VALU_DEP_3)
	v_mul_f32_e32 v17, v10, v17
	s_wait_alu 0xf1ff
	v_cndmask_b32_e64 v16, 0, 1.0, s0
	v_cmp_ge_u64_e32 vcc_lo, v[5:6], v[2:3]
	v_add_co_u32 v0, s0, v0, s2
	s_wait_alu 0xf1ff
	v_add_co_ci_u32_e64 v1, null, s3, v1, s0
	v_mul_f32_e32 v16, v17, v16
	s_or_b32 s1, vcc_lo, s1
	global_store_b32 v[14:15], v16, off
	s_wait_alu 0xfffe
	s_and_not1_b32 exec_lo, exec_lo, s1
	s_cbranch_execnz .LBB39_11
.LBB39_12:
	s_endpgm
	.section	.rodata,"a",@progbits
	.p2align	6, 0x0
	.amdhsa_kernel _ZN2at6native12_GLOBAL__N_131cdist_backward_kernel_cuda_implIfNS1_5distsIfE3infEEEvPT_PKS6_S9_S9_S9_S6_lllllll
		.amdhsa_group_segment_fixed_size 0
		.amdhsa_private_segment_fixed_size 0
		.amdhsa_kernarg_size 360
		.amdhsa_user_sgpr_count 2
		.amdhsa_user_sgpr_dispatch_ptr 0
		.amdhsa_user_sgpr_queue_ptr 0
		.amdhsa_user_sgpr_kernarg_segment_ptr 1
		.amdhsa_user_sgpr_dispatch_id 0
		.amdhsa_user_sgpr_private_segment_size 0
		.amdhsa_wavefront_size32 1
		.amdhsa_uses_dynamic_stack 0
		.amdhsa_enable_private_segment 0
		.amdhsa_system_sgpr_workgroup_id_x 1
		.amdhsa_system_sgpr_workgroup_id_y 1
		.amdhsa_system_sgpr_workgroup_id_z 1
		.amdhsa_system_sgpr_workgroup_info 0
		.amdhsa_system_vgpr_workitem_id 1
		.amdhsa_next_free_vgpr 23
		.amdhsa_next_free_sgpr 32
		.amdhsa_reserve_vcc 1
		.amdhsa_float_round_mode_32 0
		.amdhsa_float_round_mode_16_64 0
		.amdhsa_float_denorm_mode_32 3
		.amdhsa_float_denorm_mode_16_64 3
		.amdhsa_fp16_overflow 0
		.amdhsa_workgroup_processor_mode 1
		.amdhsa_memory_ordered 1
		.amdhsa_forward_progress 1
		.amdhsa_inst_pref_size 24
		.amdhsa_round_robin_scheduling 0
		.amdhsa_exception_fp_ieee_invalid_op 0
		.amdhsa_exception_fp_denorm_src 0
		.amdhsa_exception_fp_ieee_div_zero 0
		.amdhsa_exception_fp_ieee_overflow 0
		.amdhsa_exception_fp_ieee_underflow 0
		.amdhsa_exception_fp_ieee_inexact 0
		.amdhsa_exception_int_div_zero 0
	.end_amdhsa_kernel
	.section	.text._ZN2at6native12_GLOBAL__N_131cdist_backward_kernel_cuda_implIfNS1_5distsIfE3infEEEvPT_PKS6_S9_S9_S9_S6_lllllll,"axG",@progbits,_ZN2at6native12_GLOBAL__N_131cdist_backward_kernel_cuda_implIfNS1_5distsIfE3infEEEvPT_PKS6_S9_S9_S9_S6_lllllll,comdat
.Lfunc_end39:
	.size	_ZN2at6native12_GLOBAL__N_131cdist_backward_kernel_cuda_implIfNS1_5distsIfE3infEEEvPT_PKS6_S9_S9_S9_S6_lllllll, .Lfunc_end39-_ZN2at6native12_GLOBAL__N_131cdist_backward_kernel_cuda_implIfNS1_5distsIfE3infEEEvPT_PKS6_S9_S9_S9_S6_lllllll
                                        ; -- End function
	.set _ZN2at6native12_GLOBAL__N_131cdist_backward_kernel_cuda_implIfNS1_5distsIfE3infEEEvPT_PKS6_S9_S9_S9_S6_lllllll.num_vgpr, 23
	.set _ZN2at6native12_GLOBAL__N_131cdist_backward_kernel_cuda_implIfNS1_5distsIfE3infEEEvPT_PKS6_S9_S9_S9_S6_lllllll.num_agpr, 0
	.set _ZN2at6native12_GLOBAL__N_131cdist_backward_kernel_cuda_implIfNS1_5distsIfE3infEEEvPT_PKS6_S9_S9_S9_S6_lllllll.numbered_sgpr, 32
	.set _ZN2at6native12_GLOBAL__N_131cdist_backward_kernel_cuda_implIfNS1_5distsIfE3infEEEvPT_PKS6_S9_S9_S9_S6_lllllll.num_named_barrier, 0
	.set _ZN2at6native12_GLOBAL__N_131cdist_backward_kernel_cuda_implIfNS1_5distsIfE3infEEEvPT_PKS6_S9_S9_S9_S6_lllllll.private_seg_size, 0
	.set _ZN2at6native12_GLOBAL__N_131cdist_backward_kernel_cuda_implIfNS1_5distsIfE3infEEEvPT_PKS6_S9_S9_S9_S6_lllllll.uses_vcc, 1
	.set _ZN2at6native12_GLOBAL__N_131cdist_backward_kernel_cuda_implIfNS1_5distsIfE3infEEEvPT_PKS6_S9_S9_S9_S6_lllllll.uses_flat_scratch, 0
	.set _ZN2at6native12_GLOBAL__N_131cdist_backward_kernel_cuda_implIfNS1_5distsIfE3infEEEvPT_PKS6_S9_S9_S9_S6_lllllll.has_dyn_sized_stack, 0
	.set _ZN2at6native12_GLOBAL__N_131cdist_backward_kernel_cuda_implIfNS1_5distsIfE3infEEEvPT_PKS6_S9_S9_S9_S6_lllllll.has_recursion, 0
	.set _ZN2at6native12_GLOBAL__N_131cdist_backward_kernel_cuda_implIfNS1_5distsIfE3infEEEvPT_PKS6_S9_S9_S9_S6_lllllll.has_indirect_call, 0
	.section	.AMDGPU.csdata,"",@progbits
; Kernel info:
; codeLenInByte = 2968
; TotalNumSgprs: 34
; NumVgprs: 23
; ScratchSize: 0
; MemoryBound: 0
; FloatMode: 240
; IeeeMode: 1
; LDSByteSize: 0 bytes/workgroup (compile time only)
; SGPRBlocks: 0
; VGPRBlocks: 2
; NumSGPRsForWavesPerEU: 34
; NumVGPRsForWavesPerEU: 23
; Occupancy: 16
; WaveLimiterHint : 0
; COMPUTE_PGM_RSRC2:SCRATCH_EN: 0
; COMPUTE_PGM_RSRC2:USER_SGPR: 2
; COMPUTE_PGM_RSRC2:TRAP_HANDLER: 0
; COMPUTE_PGM_RSRC2:TGID_X_EN: 1
; COMPUTE_PGM_RSRC2:TGID_Y_EN: 1
; COMPUTE_PGM_RSRC2:TGID_Z_EN: 1
; COMPUTE_PGM_RSRC2:TIDIG_COMP_CNT: 1
	.section	.AMDGPU.gpr_maximums,"",@progbits
	.set amdgpu.max_num_vgpr, 0
	.set amdgpu.max_num_agpr, 0
	.set amdgpu.max_num_sgpr, 0
	.section	.AMDGPU.csdata,"",@progbits
	.type	__hip_cuid_2ff1d95f43619004,@object ; @__hip_cuid_2ff1d95f43619004
	.section	.bss,"aw",@nobits
	.globl	__hip_cuid_2ff1d95f43619004
__hip_cuid_2ff1d95f43619004:
	.byte	0                               ; 0x0
	.size	__hip_cuid_2ff1d95f43619004, 1

	.ident	"AMD clang version 22.0.0git (https://github.com/RadeonOpenCompute/llvm-project roc-7.2.4 26084 f58b06dce1f9c15707c5f808fd002e18c2accf7e)"
	.section	".note.GNU-stack","",@progbits
	.addrsig
	.addrsig_sym __hip_cuid_2ff1d95f43619004
	.amdgpu_metadata
---
amdhsa.kernels:
  - .args:
      - .address_space:  global
        .offset:         0
        .size:           8
        .value_kind:     global_buffer
      - .address_space:  global
        .offset:         8
        .size:           8
        .value_kind:     global_buffer
      - .address_space:  global
        .offset:         16
        .size:           8
        .value_kind:     global_buffer
      - .offset:         24
        .size:           8
        .value_kind:     by_value
      - .offset:         32
        .size:           8
        .value_kind:     by_value
      - .offset:         40
        .size:           8
        .value_kind:     by_value
      - .offset:         48
        .size:           8
        .value_kind:     by_value
      - .offset:         56
        .size:           8
        .value_kind:     by_value
      - .offset:         64
        .size:           8
        .value_kind:     by_value
      - .offset:         72
        .size:           4
        .value_kind:     hidden_block_count_x
      - .offset:         76
        .size:           4
        .value_kind:     hidden_block_count_y
      - .offset:         80
        .size:           4
        .value_kind:     hidden_block_count_z
      - .offset:         84
        .size:           2
        .value_kind:     hidden_group_size_x
      - .offset:         86
        .size:           2
        .value_kind:     hidden_group_size_y
      - .offset:         88
        .size:           2
        .value_kind:     hidden_group_size_z
      - .offset:         90
        .size:           2
        .value_kind:     hidden_remainder_x
      - .offset:         92
        .size:           2
        .value_kind:     hidden_remainder_y
      - .offset:         94
        .size:           2
        .value_kind:     hidden_remainder_z
      - .offset:         112
        .size:           8
        .value_kind:     hidden_global_offset_x
      - .offset:         120
        .size:           8
        .value_kind:     hidden_global_offset_y
      - .offset:         128
        .size:           8
        .value_kind:     hidden_global_offset_z
      - .offset:         136
        .size:           2
        .value_kind:     hidden_grid_dims
    .group_segment_fixed_size: 2048
    .kernarg_segment_align: 8
    .kernarg_segment_size: 328
    .language:       OpenCL C
    .language_version:
      - 2
      - 0
    .max_flat_workgroup_size: 1024
    .name:           _ZN2at6native12_GLOBAL__N_122cdist_kernel_cuda_implIdNS1_5distsIdE1pEEEvPT_PKS6_S9_S6_lllll
    .private_segment_fixed_size: 0
    .sgpr_count:     79
    .sgpr_spill_count: 0
    .symbol:         _ZN2at6native12_GLOBAL__N_122cdist_kernel_cuda_implIdNS1_5distsIdE1pEEEvPT_PKS6_S9_S6_lllll.kd
    .uniform_work_group_size: 1
    .uses_dynamic_stack: false
    .vgpr_count:     34
    .vgpr_spill_count: 0
    .wavefront_size: 32
    .workgroup_processor_mode: 1
  - .args:
      - .address_space:  global
        .offset:         0
        .size:           8
        .value_kind:     global_buffer
      - .address_space:  global
        .offset:         8
        .size:           8
        .value_kind:     global_buffer
      - .address_space:  global
        .offset:         16
        .size:           8
        .value_kind:     global_buffer
      - .offset:         24
        .size:           8
        .value_kind:     by_value
      - .offset:         32
        .size:           8
        .value_kind:     by_value
      - .offset:         40
        .size:           8
        .value_kind:     by_value
      - .offset:         48
        .size:           8
        .value_kind:     by_value
      - .offset:         56
        .size:           8
        .value_kind:     by_value
      - .offset:         64
        .size:           8
        .value_kind:     by_value
      - .offset:         72
        .size:           4
        .value_kind:     hidden_block_count_x
      - .offset:         76
        .size:           4
        .value_kind:     hidden_block_count_y
      - .offset:         80
        .size:           4
        .value_kind:     hidden_block_count_z
      - .offset:         84
        .size:           2
        .value_kind:     hidden_group_size_x
      - .offset:         86
        .size:           2
        .value_kind:     hidden_group_size_y
      - .offset:         88
        .size:           2
        .value_kind:     hidden_group_size_z
      - .offset:         90
        .size:           2
        .value_kind:     hidden_remainder_x
      - .offset:         92
        .size:           2
        .value_kind:     hidden_remainder_y
      - .offset:         94
        .size:           2
        .value_kind:     hidden_remainder_z
      - .offset:         112
        .size:           8
        .value_kind:     hidden_global_offset_x
      - .offset:         120
        .size:           8
        .value_kind:     hidden_global_offset_y
      - .offset:         128
        .size:           8
        .value_kind:     hidden_global_offset_z
      - .offset:         136
        .size:           2
        .value_kind:     hidden_grid_dims
    .group_segment_fixed_size: 2048
    .kernarg_segment_align: 8
    .kernarg_segment_size: 328
    .language:       OpenCL C
    .language_version:
      - 2
      - 0
    .max_flat_workgroup_size: 1024
    .name:           _ZN2at6native12_GLOBAL__N_122cdist_kernel_cuda_implIdNS1_5distsIdE4zeroEEEvPT_PKS6_S9_S6_lllll
    .private_segment_fixed_size: 0
    .sgpr_count:     38
    .sgpr_spill_count: 0
    .symbol:         _ZN2at6native12_GLOBAL__N_122cdist_kernel_cuda_implIdNS1_5distsIdE4zeroEEEvPT_PKS6_S9_S6_lllll.kd
    .uniform_work_group_size: 1
    .uses_dynamic_stack: false
    .vgpr_count:     11
    .vgpr_spill_count: 0
    .wavefront_size: 32
    .workgroup_processor_mode: 1
  - .args:
      - .address_space:  global
        .offset:         0
        .size:           8
        .value_kind:     global_buffer
      - .address_space:  global
        .offset:         8
        .size:           8
        .value_kind:     global_buffer
      - .address_space:  global
        .offset:         16
        .size:           8
        .value_kind:     global_buffer
      - .offset:         24
        .size:           8
        .value_kind:     by_value
      - .offset:         32
        .size:           8
        .value_kind:     by_value
      - .offset:         40
        .size:           8
        .value_kind:     by_value
      - .offset:         48
        .size:           8
        .value_kind:     by_value
      - .offset:         56
        .size:           8
        .value_kind:     by_value
      - .offset:         64
        .size:           8
        .value_kind:     by_value
      - .offset:         72
        .size:           4
        .value_kind:     hidden_block_count_x
      - .offset:         76
        .size:           4
        .value_kind:     hidden_block_count_y
      - .offset:         80
        .size:           4
        .value_kind:     hidden_block_count_z
      - .offset:         84
        .size:           2
        .value_kind:     hidden_group_size_x
      - .offset:         86
        .size:           2
        .value_kind:     hidden_group_size_y
      - .offset:         88
        .size:           2
        .value_kind:     hidden_group_size_z
      - .offset:         90
        .size:           2
        .value_kind:     hidden_remainder_x
      - .offset:         92
        .size:           2
        .value_kind:     hidden_remainder_y
      - .offset:         94
        .size:           2
        .value_kind:     hidden_remainder_z
      - .offset:         112
        .size:           8
        .value_kind:     hidden_global_offset_x
      - .offset:         120
        .size:           8
        .value_kind:     hidden_global_offset_y
      - .offset:         128
        .size:           8
        .value_kind:     hidden_global_offset_z
      - .offset:         136
        .size:           2
        .value_kind:     hidden_grid_dims
    .group_segment_fixed_size: 2048
    .kernarg_segment_align: 8
    .kernarg_segment_size: 328
    .language:       OpenCL C
    .language_version:
      - 2
      - 0
    .max_flat_workgroup_size: 1024
    .name:           _ZN2at6native12_GLOBAL__N_122cdist_kernel_cuda_implIdNS1_5distsIdE3oneEEEvPT_PKS6_S9_S6_lllll
    .private_segment_fixed_size: 0
    .sgpr_count:     38
    .sgpr_spill_count: 0
    .symbol:         _ZN2at6native12_GLOBAL__N_122cdist_kernel_cuda_implIdNS1_5distsIdE3oneEEEvPT_PKS6_S9_S6_lllll.kd
    .uniform_work_group_size: 1
    .uses_dynamic_stack: false
    .vgpr_count:     11
    .vgpr_spill_count: 0
    .wavefront_size: 32
    .workgroup_processor_mode: 1
  - .args:
      - .address_space:  global
        .offset:         0
        .size:           8
        .value_kind:     global_buffer
      - .address_space:  global
        .offset:         8
        .size:           8
        .value_kind:     global_buffer
      - .address_space:  global
        .offset:         16
        .size:           8
        .value_kind:     global_buffer
      - .offset:         24
        .size:           8
        .value_kind:     by_value
      - .offset:         32
        .size:           8
        .value_kind:     by_value
      - .offset:         40
        .size:           8
        .value_kind:     by_value
      - .offset:         48
        .size:           8
        .value_kind:     by_value
      - .offset:         56
        .size:           8
        .value_kind:     by_value
      - .offset:         64
        .size:           8
        .value_kind:     by_value
      - .offset:         72
        .size:           4
        .value_kind:     hidden_block_count_x
      - .offset:         76
        .size:           4
        .value_kind:     hidden_block_count_y
      - .offset:         80
        .size:           4
        .value_kind:     hidden_block_count_z
      - .offset:         84
        .size:           2
        .value_kind:     hidden_group_size_x
      - .offset:         86
        .size:           2
        .value_kind:     hidden_group_size_y
      - .offset:         88
        .size:           2
        .value_kind:     hidden_group_size_z
      - .offset:         90
        .size:           2
        .value_kind:     hidden_remainder_x
      - .offset:         92
        .size:           2
        .value_kind:     hidden_remainder_y
      - .offset:         94
        .size:           2
        .value_kind:     hidden_remainder_z
      - .offset:         112
        .size:           8
        .value_kind:     hidden_global_offset_x
      - .offset:         120
        .size:           8
        .value_kind:     hidden_global_offset_y
      - .offset:         128
        .size:           8
        .value_kind:     hidden_global_offset_z
      - .offset:         136
        .size:           2
        .value_kind:     hidden_grid_dims
    .group_segment_fixed_size: 2048
    .kernarg_segment_align: 8
    .kernarg_segment_size: 328
    .language:       OpenCL C
    .language_version:
      - 2
      - 0
    .max_flat_workgroup_size: 1024
    .name:           _ZN2at6native12_GLOBAL__N_122cdist_kernel_cuda_implIdNS1_5distsIdE3twoEEEvPT_PKS6_S9_S6_lllll
    .private_segment_fixed_size: 0
    .sgpr_count:     38
    .sgpr_spill_count: 0
    .symbol:         _ZN2at6native12_GLOBAL__N_122cdist_kernel_cuda_implIdNS1_5distsIdE3twoEEEvPT_PKS6_S9_S6_lllll.kd
    .uniform_work_group_size: 1
    .uses_dynamic_stack: false
    .vgpr_count:     11
    .vgpr_spill_count: 0
    .wavefront_size: 32
    .workgroup_processor_mode: 1
  - .args:
      - .address_space:  global
        .offset:         0
        .size:           8
        .value_kind:     global_buffer
      - .address_space:  global
        .offset:         8
        .size:           8
        .value_kind:     global_buffer
      - .address_space:  global
        .offset:         16
        .size:           8
        .value_kind:     global_buffer
      - .offset:         24
        .size:           8
        .value_kind:     by_value
      - .offset:         32
        .size:           8
        .value_kind:     by_value
      - .offset:         40
        .size:           8
        .value_kind:     by_value
      - .offset:         48
        .size:           8
        .value_kind:     by_value
      - .offset:         56
        .size:           8
        .value_kind:     by_value
      - .offset:         64
        .size:           8
        .value_kind:     by_value
      - .offset:         72
        .size:           4
        .value_kind:     hidden_block_count_x
      - .offset:         76
        .size:           4
        .value_kind:     hidden_block_count_y
      - .offset:         80
        .size:           4
        .value_kind:     hidden_block_count_z
      - .offset:         84
        .size:           2
        .value_kind:     hidden_group_size_x
      - .offset:         86
        .size:           2
        .value_kind:     hidden_group_size_y
      - .offset:         88
        .size:           2
        .value_kind:     hidden_group_size_z
      - .offset:         90
        .size:           2
        .value_kind:     hidden_remainder_x
      - .offset:         92
        .size:           2
        .value_kind:     hidden_remainder_y
      - .offset:         94
        .size:           2
        .value_kind:     hidden_remainder_z
      - .offset:         112
        .size:           8
        .value_kind:     hidden_global_offset_x
      - .offset:         120
        .size:           8
        .value_kind:     hidden_global_offset_y
      - .offset:         128
        .size:           8
        .value_kind:     hidden_global_offset_z
      - .offset:         136
        .size:           2
        .value_kind:     hidden_grid_dims
    .group_segment_fixed_size: 2048
    .kernarg_segment_align: 8
    .kernarg_segment_size: 328
    .language:       OpenCL C
    .language_version:
      - 2
      - 0
    .max_flat_workgroup_size: 1024
    .name:           _ZN2at6native12_GLOBAL__N_122cdist_kernel_cuda_implIdNS1_5distsIdE3infEEEvPT_PKS6_S9_S6_lllll
    .private_segment_fixed_size: 0
    .sgpr_count:     38
    .sgpr_spill_count: 0
    .symbol:         _ZN2at6native12_GLOBAL__N_122cdist_kernel_cuda_implIdNS1_5distsIdE3infEEEvPT_PKS6_S9_S6_lllll.kd
    .uniform_work_group_size: 1
    .uses_dynamic_stack: false
    .vgpr_count:     12
    .vgpr_spill_count: 0
    .wavefront_size: 32
    .workgroup_processor_mode: 1
  - .args:
      - .address_space:  global
        .offset:         0
        .size:           8
        .value_kind:     global_buffer
      - .address_space:  global
        .offset:         8
        .size:           8
        .value_kind:     global_buffer
      - .address_space:  global
        .offset:         16
        .size:           8
        .value_kind:     global_buffer
      - .offset:         24
        .size:           4
        .value_kind:     by_value
      - .offset:         32
        .size:           8
        .value_kind:     by_value
      - .offset:         40
        .size:           8
        .value_kind:     by_value
      - .offset:         48
        .size:           8
        .value_kind:     by_value
      - .offset:         56
        .size:           8
        .value_kind:     by_value
      - .offset:         64
        .size:           8
        .value_kind:     by_value
      - .offset:         72
        .size:           4
        .value_kind:     hidden_block_count_x
      - .offset:         76
        .size:           4
        .value_kind:     hidden_block_count_y
      - .offset:         80
        .size:           4
        .value_kind:     hidden_block_count_z
      - .offset:         84
        .size:           2
        .value_kind:     hidden_group_size_x
      - .offset:         86
        .size:           2
        .value_kind:     hidden_group_size_y
      - .offset:         88
        .size:           2
        .value_kind:     hidden_group_size_z
      - .offset:         90
        .size:           2
        .value_kind:     hidden_remainder_x
      - .offset:         92
        .size:           2
        .value_kind:     hidden_remainder_y
      - .offset:         94
        .size:           2
        .value_kind:     hidden_remainder_z
      - .offset:         112
        .size:           8
        .value_kind:     hidden_global_offset_x
      - .offset:         120
        .size:           8
        .value_kind:     hidden_global_offset_y
      - .offset:         128
        .size:           8
        .value_kind:     hidden_global_offset_z
      - .offset:         136
        .size:           2
        .value_kind:     hidden_grid_dims
    .group_segment_fixed_size: 1024
    .kernarg_segment_align: 8
    .kernarg_segment_size: 328
    .language:       OpenCL C
    .language_version:
      - 2
      - 0
    .max_flat_workgroup_size: 1024
    .name:           _ZN2at6native12_GLOBAL__N_122cdist_kernel_cuda_implIfNS1_5distsIfE1pEEEvPT_PKS6_S9_S6_lllll
    .private_segment_fixed_size: 0
    .sgpr_count:     38
    .sgpr_spill_count: 0
    .symbol:         _ZN2at6native12_GLOBAL__N_122cdist_kernel_cuda_implIfNS1_5distsIfE1pEEEvPT_PKS6_S9_S6_lllll.kd
    .uniform_work_group_size: 1
    .uses_dynamic_stack: false
    .vgpr_count:     22
    .vgpr_spill_count: 0
    .wavefront_size: 32
    .workgroup_processor_mode: 1
  - .args:
      - .address_space:  global
        .offset:         0
        .size:           8
        .value_kind:     global_buffer
      - .address_space:  global
        .offset:         8
        .size:           8
        .value_kind:     global_buffer
      - .address_space:  global
        .offset:         16
        .size:           8
        .value_kind:     global_buffer
      - .offset:         24
        .size:           4
        .value_kind:     by_value
      - .offset:         32
        .size:           8
        .value_kind:     by_value
      - .offset:         40
        .size:           8
        .value_kind:     by_value
      - .offset:         48
        .size:           8
        .value_kind:     by_value
      - .offset:         56
        .size:           8
        .value_kind:     by_value
      - .offset:         64
        .size:           8
        .value_kind:     by_value
      - .offset:         72
        .size:           4
        .value_kind:     hidden_block_count_x
      - .offset:         76
        .size:           4
        .value_kind:     hidden_block_count_y
      - .offset:         80
        .size:           4
        .value_kind:     hidden_block_count_z
      - .offset:         84
        .size:           2
        .value_kind:     hidden_group_size_x
      - .offset:         86
        .size:           2
        .value_kind:     hidden_group_size_y
      - .offset:         88
        .size:           2
        .value_kind:     hidden_group_size_z
      - .offset:         90
        .size:           2
        .value_kind:     hidden_remainder_x
      - .offset:         92
        .size:           2
        .value_kind:     hidden_remainder_y
      - .offset:         94
        .size:           2
        .value_kind:     hidden_remainder_z
      - .offset:         112
        .size:           8
        .value_kind:     hidden_global_offset_x
      - .offset:         120
        .size:           8
        .value_kind:     hidden_global_offset_y
      - .offset:         128
        .size:           8
        .value_kind:     hidden_global_offset_z
      - .offset:         136
        .size:           2
        .value_kind:     hidden_grid_dims
    .group_segment_fixed_size: 1024
    .kernarg_segment_align: 8
    .kernarg_segment_size: 328
    .language:       OpenCL C
    .language_version:
      - 2
      - 0
    .max_flat_workgroup_size: 1024
    .name:           _ZN2at6native12_GLOBAL__N_122cdist_kernel_cuda_implIfNS1_5distsIfE4zeroEEEvPT_PKS6_S9_S6_lllll
    .private_segment_fixed_size: 0
    .sgpr_count:     38
    .sgpr_spill_count: 0
    .symbol:         _ZN2at6native12_GLOBAL__N_122cdist_kernel_cuda_implIfNS1_5distsIfE4zeroEEEvPT_PKS6_S9_S6_lllll.kd
    .uniform_work_group_size: 1
    .uses_dynamic_stack: false
    .vgpr_count:     11
    .vgpr_spill_count: 0
    .wavefront_size: 32
    .workgroup_processor_mode: 1
  - .args:
      - .address_space:  global
        .offset:         0
        .size:           8
        .value_kind:     global_buffer
      - .address_space:  global
        .offset:         8
        .size:           8
        .value_kind:     global_buffer
      - .address_space:  global
        .offset:         16
        .size:           8
        .value_kind:     global_buffer
      - .offset:         24
        .size:           4
        .value_kind:     by_value
      - .offset:         32
        .size:           8
        .value_kind:     by_value
      - .offset:         40
        .size:           8
        .value_kind:     by_value
      - .offset:         48
        .size:           8
        .value_kind:     by_value
      - .offset:         56
        .size:           8
        .value_kind:     by_value
      - .offset:         64
        .size:           8
        .value_kind:     by_value
      - .offset:         72
        .size:           4
        .value_kind:     hidden_block_count_x
      - .offset:         76
        .size:           4
        .value_kind:     hidden_block_count_y
      - .offset:         80
        .size:           4
        .value_kind:     hidden_block_count_z
      - .offset:         84
        .size:           2
        .value_kind:     hidden_group_size_x
      - .offset:         86
        .size:           2
        .value_kind:     hidden_group_size_y
      - .offset:         88
        .size:           2
        .value_kind:     hidden_group_size_z
      - .offset:         90
        .size:           2
        .value_kind:     hidden_remainder_x
      - .offset:         92
        .size:           2
        .value_kind:     hidden_remainder_y
      - .offset:         94
        .size:           2
        .value_kind:     hidden_remainder_z
      - .offset:         112
        .size:           8
        .value_kind:     hidden_global_offset_x
      - .offset:         120
        .size:           8
        .value_kind:     hidden_global_offset_y
      - .offset:         128
        .size:           8
        .value_kind:     hidden_global_offset_z
      - .offset:         136
        .size:           2
        .value_kind:     hidden_grid_dims
    .group_segment_fixed_size: 1024
    .kernarg_segment_align: 8
    .kernarg_segment_size: 328
    .language:       OpenCL C
    .language_version:
      - 2
      - 0
    .max_flat_workgroup_size: 1024
    .name:           _ZN2at6native12_GLOBAL__N_122cdist_kernel_cuda_implIfNS1_5distsIfE3oneEEEvPT_PKS6_S9_S6_lllll
    .private_segment_fixed_size: 0
    .sgpr_count:     38
    .sgpr_spill_count: 0
    .symbol:         _ZN2at6native12_GLOBAL__N_122cdist_kernel_cuda_implIfNS1_5distsIfE3oneEEEvPT_PKS6_S9_S6_lllll.kd
    .uniform_work_group_size: 1
    .uses_dynamic_stack: false
    .vgpr_count:     10
    .vgpr_spill_count: 0
    .wavefront_size: 32
    .workgroup_processor_mode: 1
  - .args:
      - .address_space:  global
        .offset:         0
        .size:           8
        .value_kind:     global_buffer
      - .address_space:  global
        .offset:         8
        .size:           8
        .value_kind:     global_buffer
      - .address_space:  global
        .offset:         16
        .size:           8
        .value_kind:     global_buffer
      - .offset:         24
        .size:           4
        .value_kind:     by_value
      - .offset:         32
        .size:           8
        .value_kind:     by_value
      - .offset:         40
        .size:           8
        .value_kind:     by_value
      - .offset:         48
        .size:           8
        .value_kind:     by_value
      - .offset:         56
        .size:           8
        .value_kind:     by_value
      - .offset:         64
        .size:           8
        .value_kind:     by_value
      - .offset:         72
        .size:           4
        .value_kind:     hidden_block_count_x
      - .offset:         76
        .size:           4
        .value_kind:     hidden_block_count_y
      - .offset:         80
        .size:           4
        .value_kind:     hidden_block_count_z
      - .offset:         84
        .size:           2
        .value_kind:     hidden_group_size_x
      - .offset:         86
        .size:           2
        .value_kind:     hidden_group_size_y
      - .offset:         88
        .size:           2
        .value_kind:     hidden_group_size_z
      - .offset:         90
        .size:           2
        .value_kind:     hidden_remainder_x
      - .offset:         92
        .size:           2
        .value_kind:     hidden_remainder_y
      - .offset:         94
        .size:           2
        .value_kind:     hidden_remainder_z
      - .offset:         112
        .size:           8
        .value_kind:     hidden_global_offset_x
      - .offset:         120
        .size:           8
        .value_kind:     hidden_global_offset_y
      - .offset:         128
        .size:           8
        .value_kind:     hidden_global_offset_z
      - .offset:         136
        .size:           2
        .value_kind:     hidden_grid_dims
    .group_segment_fixed_size: 1024
    .kernarg_segment_align: 8
    .kernarg_segment_size: 328
    .language:       OpenCL C
    .language_version:
      - 2
      - 0
    .max_flat_workgroup_size: 1024
    .name:           _ZN2at6native12_GLOBAL__N_122cdist_kernel_cuda_implIfNS1_5distsIfE3twoEEEvPT_PKS6_S9_S6_lllll
    .private_segment_fixed_size: 0
    .sgpr_count:     38
    .sgpr_spill_count: 0
    .symbol:         _ZN2at6native12_GLOBAL__N_122cdist_kernel_cuda_implIfNS1_5distsIfE3twoEEEvPT_PKS6_S9_S6_lllll.kd
    .uniform_work_group_size: 1
    .uses_dynamic_stack: false
    .vgpr_count:     10
    .vgpr_spill_count: 0
    .wavefront_size: 32
    .workgroup_processor_mode: 1
  - .args:
      - .address_space:  global
        .offset:         0
        .size:           8
        .value_kind:     global_buffer
      - .address_space:  global
        .offset:         8
        .size:           8
        .value_kind:     global_buffer
      - .address_space:  global
        .offset:         16
        .size:           8
        .value_kind:     global_buffer
      - .offset:         24
        .size:           4
        .value_kind:     by_value
      - .offset:         32
        .size:           8
        .value_kind:     by_value
      - .offset:         40
        .size:           8
        .value_kind:     by_value
      - .offset:         48
        .size:           8
        .value_kind:     by_value
      - .offset:         56
        .size:           8
        .value_kind:     by_value
      - .offset:         64
        .size:           8
        .value_kind:     by_value
      - .offset:         72
        .size:           4
        .value_kind:     hidden_block_count_x
      - .offset:         76
        .size:           4
        .value_kind:     hidden_block_count_y
      - .offset:         80
        .size:           4
        .value_kind:     hidden_block_count_z
      - .offset:         84
        .size:           2
        .value_kind:     hidden_group_size_x
      - .offset:         86
        .size:           2
        .value_kind:     hidden_group_size_y
      - .offset:         88
        .size:           2
        .value_kind:     hidden_group_size_z
      - .offset:         90
        .size:           2
        .value_kind:     hidden_remainder_x
      - .offset:         92
        .size:           2
        .value_kind:     hidden_remainder_y
      - .offset:         94
        .size:           2
        .value_kind:     hidden_remainder_z
      - .offset:         112
        .size:           8
        .value_kind:     hidden_global_offset_x
      - .offset:         120
        .size:           8
        .value_kind:     hidden_global_offset_y
      - .offset:         128
        .size:           8
        .value_kind:     hidden_global_offset_z
      - .offset:         136
        .size:           2
        .value_kind:     hidden_grid_dims
    .group_segment_fixed_size: 1024
    .kernarg_segment_align: 8
    .kernarg_segment_size: 328
    .language:       OpenCL C
    .language_version:
      - 2
      - 0
    .max_flat_workgroup_size: 1024
    .name:           _ZN2at6native12_GLOBAL__N_122cdist_kernel_cuda_implIfNS1_5distsIfE3infEEEvPT_PKS6_S9_S6_lllll
    .private_segment_fixed_size: 0
    .sgpr_count:     38
    .sgpr_spill_count: 0
    .symbol:         _ZN2at6native12_GLOBAL__N_122cdist_kernel_cuda_implIfNS1_5distsIfE3infEEEvPT_PKS6_S9_S6_lllll.kd
    .uniform_work_group_size: 1
    .uses_dynamic_stack: false
    .vgpr_count:     10
    .vgpr_spill_count: 0
    .wavefront_size: 32
    .workgroup_processor_mode: 1
  - .args:
      - .address_space:  global
        .offset:         0
        .size:           8
        .value_kind:     global_buffer
      - .address_space:  global
        .offset:         8
        .size:           8
        .value_kind:     global_buffer
      - .offset:         16
        .size:           8
        .value_kind:     by_value
      - .offset:         24
        .size:           8
        .value_kind:     by_value
      - .offset:         32
        .size:           8
        .value_kind:     by_value
      - .offset:         40
        .size:           8
        .value_kind:     by_value
      - .offset:         48
        .size:           8
        .value_kind:     by_value
      - .offset:         56
        .size:           4
        .value_kind:     hidden_block_count_x
      - .offset:         60
        .size:           4
        .value_kind:     hidden_block_count_y
      - .offset:         64
        .size:           4
        .value_kind:     hidden_block_count_z
      - .offset:         68
        .size:           2
        .value_kind:     hidden_group_size_x
      - .offset:         70
        .size:           2
        .value_kind:     hidden_group_size_y
      - .offset:         72
        .size:           2
        .value_kind:     hidden_group_size_z
      - .offset:         74
        .size:           2
        .value_kind:     hidden_remainder_x
      - .offset:         76
        .size:           2
        .value_kind:     hidden_remainder_y
      - .offset:         78
        .size:           2
        .value_kind:     hidden_remainder_z
      - .offset:         96
        .size:           8
        .value_kind:     hidden_global_offset_x
      - .offset:         104
        .size:           8
        .value_kind:     hidden_global_offset_y
      - .offset:         112
        .size:           8
        .value_kind:     hidden_global_offset_z
      - .offset:         120
        .size:           2
        .value_kind:     hidden_grid_dims
    .group_segment_fixed_size: 2048
    .kernarg_segment_align: 8
    .kernarg_segment_size: 312
    .language:       OpenCL C
    .language_version:
      - 2
      - 0
    .max_flat_workgroup_size: 1024
    .name:           _ZN2at6native12_GLOBAL__N_122pdist_kernel_cuda_implIdNS1_5distsIdE1pEEEvPT_PKS6_llS6_dd
    .private_segment_fixed_size: 0
    .sgpr_count:     86
    .sgpr_spill_count: 0
    .symbol:         _ZN2at6native12_GLOBAL__N_122pdist_kernel_cuda_implIdNS1_5distsIdE1pEEEvPT_PKS6_llS6_dd.kd
    .uniform_work_group_size: 1
    .uses_dynamic_stack: false
    .vgpr_count:     34
    .vgpr_spill_count: 0
    .wavefront_size: 32
    .workgroup_processor_mode: 1
  - .args:
      - .address_space:  global
        .offset:         0
        .size:           8
        .value_kind:     global_buffer
      - .address_space:  global
        .offset:         8
        .size:           8
        .value_kind:     global_buffer
      - .offset:         16
        .size:           8
        .value_kind:     by_value
      - .offset:         24
        .size:           8
        .value_kind:     by_value
      - .offset:         32
        .size:           8
        .value_kind:     by_value
      - .offset:         40
        .size:           8
        .value_kind:     by_value
      - .offset:         48
        .size:           8
        .value_kind:     by_value
      - .offset:         56
        .size:           4
        .value_kind:     hidden_block_count_x
      - .offset:         60
        .size:           4
        .value_kind:     hidden_block_count_y
      - .offset:         64
        .size:           4
        .value_kind:     hidden_block_count_z
      - .offset:         68
        .size:           2
        .value_kind:     hidden_group_size_x
      - .offset:         70
        .size:           2
        .value_kind:     hidden_group_size_y
      - .offset:         72
        .size:           2
        .value_kind:     hidden_group_size_z
      - .offset:         74
        .size:           2
        .value_kind:     hidden_remainder_x
      - .offset:         76
        .size:           2
        .value_kind:     hidden_remainder_y
      - .offset:         78
        .size:           2
        .value_kind:     hidden_remainder_z
      - .offset:         96
        .size:           8
        .value_kind:     hidden_global_offset_x
      - .offset:         104
        .size:           8
        .value_kind:     hidden_global_offset_y
      - .offset:         112
        .size:           8
        .value_kind:     hidden_global_offset_z
      - .offset:         120
        .size:           2
        .value_kind:     hidden_grid_dims
    .group_segment_fixed_size: 2048
    .kernarg_segment_align: 8
    .kernarg_segment_size: 312
    .language:       OpenCL C
    .language_version:
      - 2
      - 0
    .max_flat_workgroup_size: 1024
    .name:           _ZN2at6native12_GLOBAL__N_122pdist_kernel_cuda_implIdNS1_5distsIdE4zeroEEEvPT_PKS6_llS6_dd
    .private_segment_fixed_size: 0
    .sgpr_count:     30
    .sgpr_spill_count: 0
    .symbol:         _ZN2at6native12_GLOBAL__N_122pdist_kernel_cuda_implIdNS1_5distsIdE4zeroEEEvPT_PKS6_llS6_dd.kd
    .uniform_work_group_size: 1
    .uses_dynamic_stack: false
    .vgpr_count:     11
    .vgpr_spill_count: 0
    .wavefront_size: 32
    .workgroup_processor_mode: 1
  - .args:
      - .address_space:  global
        .offset:         0
        .size:           8
        .value_kind:     global_buffer
      - .address_space:  global
        .offset:         8
        .size:           8
        .value_kind:     global_buffer
      - .offset:         16
        .size:           8
        .value_kind:     by_value
      - .offset:         24
        .size:           8
        .value_kind:     by_value
      - .offset:         32
        .size:           8
        .value_kind:     by_value
      - .offset:         40
        .size:           8
        .value_kind:     by_value
      - .offset:         48
        .size:           8
        .value_kind:     by_value
      - .offset:         56
        .size:           4
        .value_kind:     hidden_block_count_x
      - .offset:         60
        .size:           4
        .value_kind:     hidden_block_count_y
      - .offset:         64
        .size:           4
        .value_kind:     hidden_block_count_z
      - .offset:         68
        .size:           2
        .value_kind:     hidden_group_size_x
      - .offset:         70
        .size:           2
        .value_kind:     hidden_group_size_y
      - .offset:         72
        .size:           2
        .value_kind:     hidden_group_size_z
      - .offset:         74
        .size:           2
        .value_kind:     hidden_remainder_x
      - .offset:         76
        .size:           2
        .value_kind:     hidden_remainder_y
      - .offset:         78
        .size:           2
        .value_kind:     hidden_remainder_z
      - .offset:         96
        .size:           8
        .value_kind:     hidden_global_offset_x
      - .offset:         104
        .size:           8
        .value_kind:     hidden_global_offset_y
      - .offset:         112
        .size:           8
        .value_kind:     hidden_global_offset_z
      - .offset:         120
        .size:           2
        .value_kind:     hidden_grid_dims
    .group_segment_fixed_size: 2048
    .kernarg_segment_align: 8
    .kernarg_segment_size: 312
    .language:       OpenCL C
    .language_version:
      - 2
      - 0
    .max_flat_workgroup_size: 1024
    .name:           _ZN2at6native12_GLOBAL__N_122pdist_kernel_cuda_implIdNS1_5distsIdE3oneEEEvPT_PKS6_llS6_dd
    .private_segment_fixed_size: 0
    .sgpr_count:     30
    .sgpr_spill_count: 0
    .symbol:         _ZN2at6native12_GLOBAL__N_122pdist_kernel_cuda_implIdNS1_5distsIdE3oneEEEvPT_PKS6_llS6_dd.kd
    .uniform_work_group_size: 1
    .uses_dynamic_stack: false
    .vgpr_count:     11
    .vgpr_spill_count: 0
    .wavefront_size: 32
    .workgroup_processor_mode: 1
  - .args:
      - .address_space:  global
        .offset:         0
        .size:           8
        .value_kind:     global_buffer
      - .address_space:  global
        .offset:         8
        .size:           8
        .value_kind:     global_buffer
      - .offset:         16
        .size:           8
        .value_kind:     by_value
      - .offset:         24
        .size:           8
        .value_kind:     by_value
      - .offset:         32
        .size:           8
        .value_kind:     by_value
      - .offset:         40
        .size:           8
        .value_kind:     by_value
      - .offset:         48
        .size:           8
        .value_kind:     by_value
      - .offset:         56
        .size:           4
        .value_kind:     hidden_block_count_x
      - .offset:         60
        .size:           4
        .value_kind:     hidden_block_count_y
      - .offset:         64
        .size:           4
        .value_kind:     hidden_block_count_z
      - .offset:         68
        .size:           2
        .value_kind:     hidden_group_size_x
      - .offset:         70
        .size:           2
        .value_kind:     hidden_group_size_y
      - .offset:         72
        .size:           2
        .value_kind:     hidden_group_size_z
      - .offset:         74
        .size:           2
        .value_kind:     hidden_remainder_x
      - .offset:         76
        .size:           2
        .value_kind:     hidden_remainder_y
      - .offset:         78
        .size:           2
        .value_kind:     hidden_remainder_z
      - .offset:         96
        .size:           8
        .value_kind:     hidden_global_offset_x
      - .offset:         104
        .size:           8
        .value_kind:     hidden_global_offset_y
      - .offset:         112
        .size:           8
        .value_kind:     hidden_global_offset_z
      - .offset:         120
        .size:           2
        .value_kind:     hidden_grid_dims
    .group_segment_fixed_size: 2048
    .kernarg_segment_align: 8
    .kernarg_segment_size: 312
    .language:       OpenCL C
    .language_version:
      - 2
      - 0
    .max_flat_workgroup_size: 1024
    .name:           _ZN2at6native12_GLOBAL__N_122pdist_kernel_cuda_implIdNS1_5distsIdE3twoEEEvPT_PKS6_llS6_dd
    .private_segment_fixed_size: 0
    .sgpr_count:     30
    .sgpr_spill_count: 0
    .symbol:         _ZN2at6native12_GLOBAL__N_122pdist_kernel_cuda_implIdNS1_5distsIdE3twoEEEvPT_PKS6_llS6_dd.kd
    .uniform_work_group_size: 1
    .uses_dynamic_stack: false
    .vgpr_count:     11
    .vgpr_spill_count: 0
    .wavefront_size: 32
    .workgroup_processor_mode: 1
  - .args:
      - .address_space:  global
        .offset:         0
        .size:           8
        .value_kind:     global_buffer
      - .address_space:  global
        .offset:         8
        .size:           8
        .value_kind:     global_buffer
      - .offset:         16
        .size:           8
        .value_kind:     by_value
      - .offset:         24
        .size:           8
        .value_kind:     by_value
      - .offset:         32
        .size:           8
        .value_kind:     by_value
      - .offset:         40
        .size:           8
        .value_kind:     by_value
      - .offset:         48
        .size:           8
        .value_kind:     by_value
      - .offset:         56
        .size:           4
        .value_kind:     hidden_block_count_x
      - .offset:         60
        .size:           4
        .value_kind:     hidden_block_count_y
      - .offset:         64
        .size:           4
        .value_kind:     hidden_block_count_z
      - .offset:         68
        .size:           2
        .value_kind:     hidden_group_size_x
      - .offset:         70
        .size:           2
        .value_kind:     hidden_group_size_y
      - .offset:         72
        .size:           2
        .value_kind:     hidden_group_size_z
      - .offset:         74
        .size:           2
        .value_kind:     hidden_remainder_x
      - .offset:         76
        .size:           2
        .value_kind:     hidden_remainder_y
      - .offset:         78
        .size:           2
        .value_kind:     hidden_remainder_z
      - .offset:         96
        .size:           8
        .value_kind:     hidden_global_offset_x
      - .offset:         104
        .size:           8
        .value_kind:     hidden_global_offset_y
      - .offset:         112
        .size:           8
        .value_kind:     hidden_global_offset_z
      - .offset:         120
        .size:           2
        .value_kind:     hidden_grid_dims
    .group_segment_fixed_size: 2048
    .kernarg_segment_align: 8
    .kernarg_segment_size: 312
    .language:       OpenCL C
    .language_version:
      - 2
      - 0
    .max_flat_workgroup_size: 1024
    .name:           _ZN2at6native12_GLOBAL__N_122pdist_kernel_cuda_implIdNS1_5distsIdE3infEEEvPT_PKS6_llS6_dd
    .private_segment_fixed_size: 0
    .sgpr_count:     28
    .sgpr_spill_count: 0
    .symbol:         _ZN2at6native12_GLOBAL__N_122pdist_kernel_cuda_implIdNS1_5distsIdE3infEEEvPT_PKS6_llS6_dd.kd
    .uniform_work_group_size: 1
    .uses_dynamic_stack: false
    .vgpr_count:     12
    .vgpr_spill_count: 0
    .wavefront_size: 32
    .workgroup_processor_mode: 1
  - .args:
      - .address_space:  global
        .offset:         0
        .size:           8
        .value_kind:     global_buffer
      - .address_space:  global
        .offset:         8
        .size:           8
        .value_kind:     global_buffer
      - .offset:         16
        .size:           8
        .value_kind:     by_value
      - .offset:         24
        .size:           8
        .value_kind:     by_value
      - .offset:         32
        .size:           4
        .value_kind:     by_value
      - .offset:         40
        .size:           8
        .value_kind:     by_value
      - .offset:         48
        .size:           8
        .value_kind:     by_value
      - .offset:         56
        .size:           4
        .value_kind:     hidden_block_count_x
      - .offset:         60
        .size:           4
        .value_kind:     hidden_block_count_y
      - .offset:         64
        .size:           4
        .value_kind:     hidden_block_count_z
      - .offset:         68
        .size:           2
        .value_kind:     hidden_group_size_x
      - .offset:         70
        .size:           2
        .value_kind:     hidden_group_size_y
      - .offset:         72
        .size:           2
        .value_kind:     hidden_group_size_z
      - .offset:         74
        .size:           2
        .value_kind:     hidden_remainder_x
      - .offset:         76
        .size:           2
        .value_kind:     hidden_remainder_y
      - .offset:         78
        .size:           2
        .value_kind:     hidden_remainder_z
      - .offset:         96
        .size:           8
        .value_kind:     hidden_global_offset_x
      - .offset:         104
        .size:           8
        .value_kind:     hidden_global_offset_y
      - .offset:         112
        .size:           8
        .value_kind:     hidden_global_offset_z
      - .offset:         120
        .size:           2
        .value_kind:     hidden_grid_dims
    .group_segment_fixed_size: 1024
    .kernarg_segment_align: 8
    .kernarg_segment_size: 312
    .language:       OpenCL C
    .language_version:
      - 2
      - 0
    .max_flat_workgroup_size: 1024
    .name:           _ZN2at6native12_GLOBAL__N_122pdist_kernel_cuda_implIfNS1_5distsIfE1pEEEvPT_PKS6_llS6_dd
    .private_segment_fixed_size: 0
    .sgpr_count:     32
    .sgpr_spill_count: 0
    .symbol:         _ZN2at6native12_GLOBAL__N_122pdist_kernel_cuda_implIfNS1_5distsIfE1pEEEvPT_PKS6_llS6_dd.kd
    .uniform_work_group_size: 1
    .uses_dynamic_stack: false
    .vgpr_count:     22
    .vgpr_spill_count: 0
    .wavefront_size: 32
    .workgroup_processor_mode: 1
  - .args:
      - .address_space:  global
        .offset:         0
        .size:           8
        .value_kind:     global_buffer
      - .address_space:  global
        .offset:         8
        .size:           8
        .value_kind:     global_buffer
      - .offset:         16
        .size:           8
        .value_kind:     by_value
      - .offset:         24
        .size:           8
        .value_kind:     by_value
      - .offset:         32
        .size:           4
        .value_kind:     by_value
      - .offset:         40
        .size:           8
        .value_kind:     by_value
      - .offset:         48
        .size:           8
        .value_kind:     by_value
      - .offset:         56
        .size:           4
        .value_kind:     hidden_block_count_x
      - .offset:         60
        .size:           4
        .value_kind:     hidden_block_count_y
      - .offset:         64
        .size:           4
        .value_kind:     hidden_block_count_z
      - .offset:         68
        .size:           2
        .value_kind:     hidden_group_size_x
      - .offset:         70
        .size:           2
        .value_kind:     hidden_group_size_y
      - .offset:         72
        .size:           2
        .value_kind:     hidden_group_size_z
      - .offset:         74
        .size:           2
        .value_kind:     hidden_remainder_x
      - .offset:         76
        .size:           2
        .value_kind:     hidden_remainder_y
      - .offset:         78
        .size:           2
        .value_kind:     hidden_remainder_z
      - .offset:         96
        .size:           8
        .value_kind:     hidden_global_offset_x
      - .offset:         104
        .size:           8
        .value_kind:     hidden_global_offset_y
      - .offset:         112
        .size:           8
        .value_kind:     hidden_global_offset_z
      - .offset:         120
        .size:           2
        .value_kind:     hidden_grid_dims
    .group_segment_fixed_size: 1024
    .kernarg_segment_align: 8
    .kernarg_segment_size: 312
    .language:       OpenCL C
    .language_version:
      - 2
      - 0
    .max_flat_workgroup_size: 1024
    .name:           _ZN2at6native12_GLOBAL__N_122pdist_kernel_cuda_implIfNS1_5distsIfE4zeroEEEvPT_PKS6_llS6_dd
    .private_segment_fixed_size: 0
    .sgpr_count:     30
    .sgpr_spill_count: 0
    .symbol:         _ZN2at6native12_GLOBAL__N_122pdist_kernel_cuda_implIfNS1_5distsIfE4zeroEEEvPT_PKS6_llS6_dd.kd
    .uniform_work_group_size: 1
    .uses_dynamic_stack: false
    .vgpr_count:     11
    .vgpr_spill_count: 0
    .wavefront_size: 32
    .workgroup_processor_mode: 1
  - .args:
      - .address_space:  global
        .offset:         0
        .size:           8
        .value_kind:     global_buffer
      - .address_space:  global
        .offset:         8
        .size:           8
        .value_kind:     global_buffer
      - .offset:         16
        .size:           8
        .value_kind:     by_value
      - .offset:         24
        .size:           8
        .value_kind:     by_value
      - .offset:         32
        .size:           4
        .value_kind:     by_value
      - .offset:         40
        .size:           8
        .value_kind:     by_value
      - .offset:         48
        .size:           8
        .value_kind:     by_value
      - .offset:         56
        .size:           4
        .value_kind:     hidden_block_count_x
      - .offset:         60
        .size:           4
        .value_kind:     hidden_block_count_y
      - .offset:         64
        .size:           4
        .value_kind:     hidden_block_count_z
      - .offset:         68
        .size:           2
        .value_kind:     hidden_group_size_x
      - .offset:         70
        .size:           2
        .value_kind:     hidden_group_size_y
      - .offset:         72
        .size:           2
        .value_kind:     hidden_group_size_z
      - .offset:         74
        .size:           2
        .value_kind:     hidden_remainder_x
      - .offset:         76
        .size:           2
        .value_kind:     hidden_remainder_y
      - .offset:         78
        .size:           2
        .value_kind:     hidden_remainder_z
      - .offset:         96
        .size:           8
        .value_kind:     hidden_global_offset_x
      - .offset:         104
        .size:           8
        .value_kind:     hidden_global_offset_y
      - .offset:         112
        .size:           8
        .value_kind:     hidden_global_offset_z
      - .offset:         120
        .size:           2
        .value_kind:     hidden_grid_dims
    .group_segment_fixed_size: 1024
    .kernarg_segment_align: 8
    .kernarg_segment_size: 312
    .language:       OpenCL C
    .language_version:
      - 2
      - 0
    .max_flat_workgroup_size: 1024
    .name:           _ZN2at6native12_GLOBAL__N_122pdist_kernel_cuda_implIfNS1_5distsIfE3oneEEEvPT_PKS6_llS6_dd
    .private_segment_fixed_size: 0
    .sgpr_count:     30
    .sgpr_spill_count: 0
    .symbol:         _ZN2at6native12_GLOBAL__N_122pdist_kernel_cuda_implIfNS1_5distsIfE3oneEEEvPT_PKS6_llS6_dd.kd
    .uniform_work_group_size: 1
    .uses_dynamic_stack: false
    .vgpr_count:     10
    .vgpr_spill_count: 0
    .wavefront_size: 32
    .workgroup_processor_mode: 1
  - .args:
      - .address_space:  global
        .offset:         0
        .size:           8
        .value_kind:     global_buffer
      - .address_space:  global
        .offset:         8
        .size:           8
        .value_kind:     global_buffer
      - .offset:         16
        .size:           8
        .value_kind:     by_value
      - .offset:         24
        .size:           8
        .value_kind:     by_value
      - .offset:         32
        .size:           4
        .value_kind:     by_value
      - .offset:         40
        .size:           8
        .value_kind:     by_value
      - .offset:         48
        .size:           8
        .value_kind:     by_value
      - .offset:         56
        .size:           4
        .value_kind:     hidden_block_count_x
      - .offset:         60
        .size:           4
        .value_kind:     hidden_block_count_y
      - .offset:         64
        .size:           4
        .value_kind:     hidden_block_count_z
      - .offset:         68
        .size:           2
        .value_kind:     hidden_group_size_x
      - .offset:         70
        .size:           2
        .value_kind:     hidden_group_size_y
      - .offset:         72
        .size:           2
        .value_kind:     hidden_group_size_z
      - .offset:         74
        .size:           2
        .value_kind:     hidden_remainder_x
      - .offset:         76
        .size:           2
        .value_kind:     hidden_remainder_y
      - .offset:         78
        .size:           2
        .value_kind:     hidden_remainder_z
      - .offset:         96
        .size:           8
        .value_kind:     hidden_global_offset_x
      - .offset:         104
        .size:           8
        .value_kind:     hidden_global_offset_y
      - .offset:         112
        .size:           8
        .value_kind:     hidden_global_offset_z
      - .offset:         120
        .size:           2
        .value_kind:     hidden_grid_dims
    .group_segment_fixed_size: 1024
    .kernarg_segment_align: 8
    .kernarg_segment_size: 312
    .language:       OpenCL C
    .language_version:
      - 2
      - 0
    .max_flat_workgroup_size: 1024
    .name:           _ZN2at6native12_GLOBAL__N_122pdist_kernel_cuda_implIfNS1_5distsIfE3twoEEEvPT_PKS6_llS6_dd
    .private_segment_fixed_size: 0
    .sgpr_count:     30
    .sgpr_spill_count: 0
    .symbol:         _ZN2at6native12_GLOBAL__N_122pdist_kernel_cuda_implIfNS1_5distsIfE3twoEEEvPT_PKS6_llS6_dd.kd
    .uniform_work_group_size: 1
    .uses_dynamic_stack: false
    .vgpr_count:     10
    .vgpr_spill_count: 0
    .wavefront_size: 32
    .workgroup_processor_mode: 1
  - .args:
      - .address_space:  global
        .offset:         0
        .size:           8
        .value_kind:     global_buffer
      - .address_space:  global
        .offset:         8
        .size:           8
        .value_kind:     global_buffer
      - .offset:         16
        .size:           8
        .value_kind:     by_value
      - .offset:         24
        .size:           8
        .value_kind:     by_value
      - .offset:         32
        .size:           4
        .value_kind:     by_value
      - .offset:         40
        .size:           8
        .value_kind:     by_value
      - .offset:         48
        .size:           8
        .value_kind:     by_value
      - .offset:         56
        .size:           4
        .value_kind:     hidden_block_count_x
      - .offset:         60
        .size:           4
        .value_kind:     hidden_block_count_y
      - .offset:         64
        .size:           4
        .value_kind:     hidden_block_count_z
      - .offset:         68
        .size:           2
        .value_kind:     hidden_group_size_x
      - .offset:         70
        .size:           2
        .value_kind:     hidden_group_size_y
      - .offset:         72
        .size:           2
        .value_kind:     hidden_group_size_z
      - .offset:         74
        .size:           2
        .value_kind:     hidden_remainder_x
      - .offset:         76
        .size:           2
        .value_kind:     hidden_remainder_y
      - .offset:         78
        .size:           2
        .value_kind:     hidden_remainder_z
      - .offset:         96
        .size:           8
        .value_kind:     hidden_global_offset_x
      - .offset:         104
        .size:           8
        .value_kind:     hidden_global_offset_y
      - .offset:         112
        .size:           8
        .value_kind:     hidden_global_offset_z
      - .offset:         120
        .size:           2
        .value_kind:     hidden_grid_dims
    .group_segment_fixed_size: 1024
    .kernarg_segment_align: 8
    .kernarg_segment_size: 312
    .language:       OpenCL C
    .language_version:
      - 2
      - 0
    .max_flat_workgroup_size: 1024
    .name:           _ZN2at6native12_GLOBAL__N_122pdist_kernel_cuda_implIfNS1_5distsIfE3infEEEvPT_PKS6_llS6_dd
    .private_segment_fixed_size: 0
    .sgpr_count:     30
    .sgpr_spill_count: 0
    .symbol:         _ZN2at6native12_GLOBAL__N_122pdist_kernel_cuda_implIfNS1_5distsIfE3infEEEvPT_PKS6_llS6_dd.kd
    .uniform_work_group_size: 1
    .uses_dynamic_stack: false
    .vgpr_count:     10
    .vgpr_spill_count: 0
    .wavefront_size: 32
    .workgroup_processor_mode: 1
  - .args:
      - .address_space:  global
        .offset:         0
        .size:           8
        .value_kind:     global_buffer
      - .address_space:  global
        .offset:         8
        .size:           8
        .value_kind:     global_buffer
      - .address_space:  global
        .offset:         16
        .size:           8
        .value_kind:     global_buffer
      - .address_space:  global
        .offset:         24
        .size:           8
        .value_kind:     global_buffer
      - .offset:         32
        .size:           8
        .value_kind:     by_value
      - .offset:         40
        .size:           8
        .value_kind:     by_value
      - .offset:         48
        .size:           8
        .value_kind:     by_value
      - .offset:         56
        .size:           8
        .value_kind:     by_value
      - .offset:         64
        .size:           8
        .value_kind:     by_value
      - .offset:         72
        .size:           8
        .value_kind:     by_value
      - .offset:         80
        .size:           8
        .value_kind:     by_value
      - .offset:         88
        .size:           4
        .value_kind:     hidden_block_count_x
      - .offset:         92
        .size:           4
        .value_kind:     hidden_block_count_y
      - .offset:         96
        .size:           4
        .value_kind:     hidden_block_count_z
      - .offset:         100
        .size:           2
        .value_kind:     hidden_group_size_x
      - .offset:         102
        .size:           2
        .value_kind:     hidden_group_size_y
      - .offset:         104
        .size:           2
        .value_kind:     hidden_group_size_z
      - .offset:         106
        .size:           2
        .value_kind:     hidden_remainder_x
      - .offset:         108
        .size:           2
        .value_kind:     hidden_remainder_y
      - .offset:         110
        .size:           2
        .value_kind:     hidden_remainder_z
      - .offset:         128
        .size:           8
        .value_kind:     hidden_global_offset_x
      - .offset:         136
        .size:           8
        .value_kind:     hidden_global_offset_y
      - .offset:         144
        .size:           8
        .value_kind:     hidden_global_offset_z
      - .offset:         152
        .size:           2
        .value_kind:     hidden_grid_dims
    .group_segment_fixed_size: 0
    .kernarg_segment_align: 8
    .kernarg_segment_size: 344
    .language:       OpenCL C
    .language_version:
      - 2
      - 0
    .max_flat_workgroup_size: 1024
    .name:           _ZN2at6native12_GLOBAL__N_131pdist_backward_kernel_cuda_implIdNS1_5distsIdE1pEEEvPT_PKS6_S9_S9_llllS6_dd
    .private_segment_fixed_size: 0
    .sgpr_count:     78
    .sgpr_spill_count: 0
    .symbol:         _ZN2at6native12_GLOBAL__N_131pdist_backward_kernel_cuda_implIdNS1_5distsIdE1pEEEvPT_PKS6_S9_S9_llllS6_dd.kd
    .uniform_work_group_size: 1
    .uses_dynamic_stack: false
    .vgpr_count:     46
    .vgpr_spill_count: 0
    .wavefront_size: 32
    .workgroup_processor_mode: 1
  - .args:
      - .address_space:  global
        .offset:         0
        .size:           8
        .value_kind:     global_buffer
      - .address_space:  global
        .offset:         8
        .size:           8
        .value_kind:     global_buffer
      - .address_space:  global
        .offset:         16
        .size:           8
        .value_kind:     global_buffer
      - .address_space:  global
        .offset:         24
        .size:           8
        .value_kind:     global_buffer
      - .offset:         32
        .size:           8
        .value_kind:     by_value
      - .offset:         40
        .size:           8
        .value_kind:     by_value
      - .offset:         48
        .size:           8
        .value_kind:     by_value
      - .offset:         56
        .size:           8
        .value_kind:     by_value
      - .offset:         64
        .size:           8
        .value_kind:     by_value
      - .offset:         72
        .size:           8
        .value_kind:     by_value
      - .offset:         80
        .size:           8
        .value_kind:     by_value
      - .offset:         88
        .size:           4
        .value_kind:     hidden_block_count_x
      - .offset:         92
        .size:           4
        .value_kind:     hidden_block_count_y
      - .offset:         96
        .size:           4
        .value_kind:     hidden_block_count_z
      - .offset:         100
        .size:           2
        .value_kind:     hidden_group_size_x
      - .offset:         102
        .size:           2
        .value_kind:     hidden_group_size_y
      - .offset:         104
        .size:           2
        .value_kind:     hidden_group_size_z
      - .offset:         106
        .size:           2
        .value_kind:     hidden_remainder_x
      - .offset:         108
        .size:           2
        .value_kind:     hidden_remainder_y
      - .offset:         110
        .size:           2
        .value_kind:     hidden_remainder_z
      - .offset:         128
        .size:           8
        .value_kind:     hidden_global_offset_x
      - .offset:         136
        .size:           8
        .value_kind:     hidden_global_offset_y
      - .offset:         144
        .size:           8
        .value_kind:     hidden_global_offset_z
      - .offset:         152
        .size:           2
        .value_kind:     hidden_grid_dims
    .group_segment_fixed_size: 0
    .kernarg_segment_align: 8
    .kernarg_segment_size: 344
    .language:       OpenCL C
    .language_version:
      - 2
      - 0
    .max_flat_workgroup_size: 1024
    .name:           _ZN2at6native12_GLOBAL__N_131pdist_backward_kernel_cuda_implIdNS1_5distsIdE3oneEEEvPT_PKS6_S9_S9_llllS6_dd
    .private_segment_fixed_size: 0
    .sgpr_count:     22
    .sgpr_spill_count: 0
    .symbol:         _ZN2at6native12_GLOBAL__N_131pdist_backward_kernel_cuda_implIdNS1_5distsIdE3oneEEEvPT_PKS6_S9_S9_llllS6_dd.kd
    .uniform_work_group_size: 1
    .uses_dynamic_stack: false
    .vgpr_count:     23
    .vgpr_spill_count: 0
    .wavefront_size: 32
    .workgroup_processor_mode: 1
  - .args:
      - .address_space:  global
        .offset:         0
        .size:           8
        .value_kind:     global_buffer
      - .address_space:  global
        .offset:         8
        .size:           8
        .value_kind:     global_buffer
      - .address_space:  global
        .offset:         16
        .size:           8
        .value_kind:     global_buffer
      - .address_space:  global
        .offset:         24
        .size:           8
        .value_kind:     global_buffer
      - .offset:         32
        .size:           8
        .value_kind:     by_value
      - .offset:         40
        .size:           8
        .value_kind:     by_value
      - .offset:         48
        .size:           8
        .value_kind:     by_value
      - .offset:         56
        .size:           8
        .value_kind:     by_value
      - .offset:         64
        .size:           8
        .value_kind:     by_value
      - .offset:         72
        .size:           8
        .value_kind:     by_value
      - .offset:         80
        .size:           8
        .value_kind:     by_value
      - .offset:         88
        .size:           4
        .value_kind:     hidden_block_count_x
      - .offset:         92
        .size:           4
        .value_kind:     hidden_block_count_y
      - .offset:         96
        .size:           4
        .value_kind:     hidden_block_count_z
      - .offset:         100
        .size:           2
        .value_kind:     hidden_group_size_x
      - .offset:         102
        .size:           2
        .value_kind:     hidden_group_size_y
      - .offset:         104
        .size:           2
        .value_kind:     hidden_group_size_z
      - .offset:         106
        .size:           2
        .value_kind:     hidden_remainder_x
      - .offset:         108
        .size:           2
        .value_kind:     hidden_remainder_y
      - .offset:         110
        .size:           2
        .value_kind:     hidden_remainder_z
      - .offset:         128
        .size:           8
        .value_kind:     hidden_global_offset_x
      - .offset:         136
        .size:           8
        .value_kind:     hidden_global_offset_y
      - .offset:         144
        .size:           8
        .value_kind:     hidden_global_offset_z
      - .offset:         152
        .size:           2
        .value_kind:     hidden_grid_dims
    .group_segment_fixed_size: 0
    .kernarg_segment_align: 8
    .kernarg_segment_size: 344
    .language:       OpenCL C
    .language_version:
      - 2
      - 0
    .max_flat_workgroup_size: 1024
    .name:           _ZN2at6native12_GLOBAL__N_131pdist_backward_kernel_cuda_implIdNS1_5distsIdE6lt_twoEEEvPT_PKS6_S9_S9_llllS6_dd
    .private_segment_fixed_size: 0
    .sgpr_count:     78
    .sgpr_spill_count: 0
    .symbol:         _ZN2at6native12_GLOBAL__N_131pdist_backward_kernel_cuda_implIdNS1_5distsIdE6lt_twoEEEvPT_PKS6_S9_S9_llllS6_dd.kd
    .uniform_work_group_size: 1
    .uses_dynamic_stack: false
    .vgpr_count:     46
    .vgpr_spill_count: 0
    .wavefront_size: 32
    .workgroup_processor_mode: 1
  - .args:
      - .address_space:  global
        .offset:         0
        .size:           8
        .value_kind:     global_buffer
      - .address_space:  global
        .offset:         8
        .size:           8
        .value_kind:     global_buffer
      - .address_space:  global
        .offset:         16
        .size:           8
        .value_kind:     global_buffer
      - .address_space:  global
        .offset:         24
        .size:           8
        .value_kind:     global_buffer
      - .offset:         32
        .size:           8
        .value_kind:     by_value
      - .offset:         40
        .size:           8
        .value_kind:     by_value
      - .offset:         48
        .size:           8
        .value_kind:     by_value
      - .offset:         56
        .size:           8
        .value_kind:     by_value
      - .offset:         64
        .size:           8
        .value_kind:     by_value
      - .offset:         72
        .size:           8
        .value_kind:     by_value
      - .offset:         80
        .size:           8
        .value_kind:     by_value
      - .offset:         88
        .size:           4
        .value_kind:     hidden_block_count_x
      - .offset:         92
        .size:           4
        .value_kind:     hidden_block_count_y
      - .offset:         96
        .size:           4
        .value_kind:     hidden_block_count_z
      - .offset:         100
        .size:           2
        .value_kind:     hidden_group_size_x
      - .offset:         102
        .size:           2
        .value_kind:     hidden_group_size_y
      - .offset:         104
        .size:           2
        .value_kind:     hidden_group_size_z
      - .offset:         106
        .size:           2
        .value_kind:     hidden_remainder_x
      - .offset:         108
        .size:           2
        .value_kind:     hidden_remainder_y
      - .offset:         110
        .size:           2
        .value_kind:     hidden_remainder_z
      - .offset:         128
        .size:           8
        .value_kind:     hidden_global_offset_x
      - .offset:         136
        .size:           8
        .value_kind:     hidden_global_offset_y
      - .offset:         144
        .size:           8
        .value_kind:     hidden_global_offset_z
      - .offset:         152
        .size:           2
        .value_kind:     hidden_grid_dims
    .group_segment_fixed_size: 0
    .kernarg_segment_align: 8
    .kernarg_segment_size: 344
    .language:       OpenCL C
    .language_version:
      - 2
      - 0
    .max_flat_workgroup_size: 1024
    .name:           _ZN2at6native12_GLOBAL__N_131pdist_backward_kernel_cuda_implIdNS1_5distsIdE3twoEEEvPT_PKS6_S9_S9_llllS6_dd
    .private_segment_fixed_size: 0
    .sgpr_count:     26
    .sgpr_spill_count: 0
    .symbol:         _ZN2at6native12_GLOBAL__N_131pdist_backward_kernel_cuda_implIdNS1_5distsIdE3twoEEEvPT_PKS6_S9_S9_llllS6_dd.kd
    .uniform_work_group_size: 1
    .uses_dynamic_stack: false
    .vgpr_count:     28
    .vgpr_spill_count: 0
    .wavefront_size: 32
    .workgroup_processor_mode: 1
  - .args:
      - .address_space:  global
        .offset:         0
        .size:           8
        .value_kind:     global_buffer
      - .address_space:  global
        .offset:         8
        .size:           8
        .value_kind:     global_buffer
      - .address_space:  global
        .offset:         16
        .size:           8
        .value_kind:     global_buffer
      - .address_space:  global
        .offset:         24
        .size:           8
        .value_kind:     global_buffer
      - .offset:         32
        .size:           8
        .value_kind:     by_value
      - .offset:         40
        .size:           8
        .value_kind:     by_value
      - .offset:         48
        .size:           8
        .value_kind:     by_value
      - .offset:         56
        .size:           8
        .value_kind:     by_value
      - .offset:         64
        .size:           8
        .value_kind:     by_value
      - .offset:         72
        .size:           8
        .value_kind:     by_value
      - .offset:         80
        .size:           8
        .value_kind:     by_value
      - .offset:         88
        .size:           4
        .value_kind:     hidden_block_count_x
      - .offset:         92
        .size:           4
        .value_kind:     hidden_block_count_y
      - .offset:         96
        .size:           4
        .value_kind:     hidden_block_count_z
      - .offset:         100
        .size:           2
        .value_kind:     hidden_group_size_x
      - .offset:         102
        .size:           2
        .value_kind:     hidden_group_size_y
      - .offset:         104
        .size:           2
        .value_kind:     hidden_group_size_z
      - .offset:         106
        .size:           2
        .value_kind:     hidden_remainder_x
      - .offset:         108
        .size:           2
        .value_kind:     hidden_remainder_y
      - .offset:         110
        .size:           2
        .value_kind:     hidden_remainder_z
      - .offset:         128
        .size:           8
        .value_kind:     hidden_global_offset_x
      - .offset:         136
        .size:           8
        .value_kind:     hidden_global_offset_y
      - .offset:         144
        .size:           8
        .value_kind:     hidden_global_offset_z
      - .offset:         152
        .size:           2
        .value_kind:     hidden_grid_dims
    .group_segment_fixed_size: 0
    .kernarg_segment_align: 8
    .kernarg_segment_size: 344
    .language:       OpenCL C
    .language_version:
      - 2
      - 0
    .max_flat_workgroup_size: 1024
    .name:           _ZN2at6native12_GLOBAL__N_131pdist_backward_kernel_cuda_implIdNS1_5distsIdE3infEEEvPT_PKS6_S9_S9_llllS6_dd
    .private_segment_fixed_size: 0
    .sgpr_count:     26
    .sgpr_spill_count: 0
    .symbol:         _ZN2at6native12_GLOBAL__N_131pdist_backward_kernel_cuda_implIdNS1_5distsIdE3infEEEvPT_PKS6_S9_S9_llllS6_dd.kd
    .uniform_work_group_size: 1
    .uses_dynamic_stack: false
    .vgpr_count:     26
    .vgpr_spill_count: 0
    .wavefront_size: 32
    .workgroup_processor_mode: 1
  - .args:
      - .address_space:  global
        .offset:         0
        .size:           8
        .value_kind:     global_buffer
      - .address_space:  global
        .offset:         8
        .size:           8
        .value_kind:     global_buffer
      - .address_space:  global
        .offset:         16
        .size:           8
        .value_kind:     global_buffer
      - .address_space:  global
        .offset:         24
        .size:           8
        .value_kind:     global_buffer
      - .offset:         32
        .size:           8
        .value_kind:     by_value
      - .offset:         40
        .size:           8
        .value_kind:     by_value
      - .offset:         48
        .size:           8
        .value_kind:     by_value
      - .offset:         56
        .size:           8
        .value_kind:     by_value
      - .offset:         64
        .size:           4
        .value_kind:     by_value
      - .offset:         72
        .size:           8
        .value_kind:     by_value
      - .offset:         80
        .size:           8
        .value_kind:     by_value
      - .offset:         88
        .size:           4
        .value_kind:     hidden_block_count_x
      - .offset:         92
        .size:           4
        .value_kind:     hidden_block_count_y
      - .offset:         96
        .size:           4
        .value_kind:     hidden_block_count_z
      - .offset:         100
        .size:           2
        .value_kind:     hidden_group_size_x
      - .offset:         102
        .size:           2
        .value_kind:     hidden_group_size_y
      - .offset:         104
        .size:           2
        .value_kind:     hidden_group_size_z
      - .offset:         106
        .size:           2
        .value_kind:     hidden_remainder_x
      - .offset:         108
        .size:           2
        .value_kind:     hidden_remainder_y
      - .offset:         110
        .size:           2
        .value_kind:     hidden_remainder_z
      - .offset:         128
        .size:           8
        .value_kind:     hidden_global_offset_x
      - .offset:         136
        .size:           8
        .value_kind:     hidden_global_offset_y
      - .offset:         144
        .size:           8
        .value_kind:     hidden_global_offset_z
      - .offset:         152
        .size:           2
        .value_kind:     hidden_grid_dims
    .group_segment_fixed_size: 0
    .kernarg_segment_align: 8
    .kernarg_segment_size: 344
    .language:       OpenCL C
    .language_version:
      - 2
      - 0
    .max_flat_workgroup_size: 1024
    .name:           _ZN2at6native12_GLOBAL__N_131pdist_backward_kernel_cuda_implIfNS1_5distsIfE1pEEEvPT_PKS6_S9_S9_llllS6_dd
    .private_segment_fixed_size: 0
    .sgpr_count:     26
    .sgpr_spill_count: 0
    .symbol:         _ZN2at6native12_GLOBAL__N_131pdist_backward_kernel_cuda_implIfNS1_5distsIfE1pEEEvPT_PKS6_S9_S9_llllS6_dd.kd
    .uniform_work_group_size: 1
    .uses_dynamic_stack: false
    .vgpr_count:     30
    .vgpr_spill_count: 0
    .wavefront_size: 32
    .workgroup_processor_mode: 1
  - .args:
      - .address_space:  global
        .offset:         0
        .size:           8
        .value_kind:     global_buffer
      - .address_space:  global
        .offset:         8
        .size:           8
        .value_kind:     global_buffer
      - .address_space:  global
        .offset:         16
        .size:           8
        .value_kind:     global_buffer
      - .address_space:  global
        .offset:         24
        .size:           8
        .value_kind:     global_buffer
      - .offset:         32
        .size:           8
        .value_kind:     by_value
      - .offset:         40
        .size:           8
        .value_kind:     by_value
      - .offset:         48
        .size:           8
        .value_kind:     by_value
      - .offset:         56
        .size:           8
        .value_kind:     by_value
      - .offset:         64
        .size:           4
        .value_kind:     by_value
      - .offset:         72
        .size:           8
        .value_kind:     by_value
      - .offset:         80
        .size:           8
        .value_kind:     by_value
      - .offset:         88
        .size:           4
        .value_kind:     hidden_block_count_x
      - .offset:         92
        .size:           4
        .value_kind:     hidden_block_count_y
      - .offset:         96
        .size:           4
        .value_kind:     hidden_block_count_z
      - .offset:         100
        .size:           2
        .value_kind:     hidden_group_size_x
      - .offset:         102
        .size:           2
        .value_kind:     hidden_group_size_y
      - .offset:         104
        .size:           2
        .value_kind:     hidden_group_size_z
      - .offset:         106
        .size:           2
        .value_kind:     hidden_remainder_x
      - .offset:         108
        .size:           2
        .value_kind:     hidden_remainder_y
      - .offset:         110
        .size:           2
        .value_kind:     hidden_remainder_z
      - .offset:         128
        .size:           8
        .value_kind:     hidden_global_offset_x
      - .offset:         136
        .size:           8
        .value_kind:     hidden_global_offset_y
      - .offset:         144
        .size:           8
        .value_kind:     hidden_global_offset_z
      - .offset:         152
        .size:           2
        .value_kind:     hidden_grid_dims
    .group_segment_fixed_size: 0
    .kernarg_segment_align: 8
    .kernarg_segment_size: 344
    .language:       OpenCL C
    .language_version:
      - 2
      - 0
    .max_flat_workgroup_size: 1024
    .name:           _ZN2at6native12_GLOBAL__N_131pdist_backward_kernel_cuda_implIfNS1_5distsIfE3oneEEEvPT_PKS6_S9_S9_llllS6_dd
    .private_segment_fixed_size: 0
    .sgpr_count:     22
    .sgpr_spill_count: 0
    .symbol:         _ZN2at6native12_GLOBAL__N_131pdist_backward_kernel_cuda_implIfNS1_5distsIfE3oneEEEvPT_PKS6_S9_S9_llllS6_dd.kd
    .uniform_work_group_size: 1
    .uses_dynamic_stack: false
    .vgpr_count:     22
    .vgpr_spill_count: 0
    .wavefront_size: 32
    .workgroup_processor_mode: 1
  - .args:
      - .address_space:  global
        .offset:         0
        .size:           8
        .value_kind:     global_buffer
      - .address_space:  global
        .offset:         8
        .size:           8
        .value_kind:     global_buffer
      - .address_space:  global
        .offset:         16
        .size:           8
        .value_kind:     global_buffer
      - .address_space:  global
        .offset:         24
        .size:           8
        .value_kind:     global_buffer
      - .offset:         32
        .size:           8
        .value_kind:     by_value
      - .offset:         40
        .size:           8
        .value_kind:     by_value
      - .offset:         48
        .size:           8
        .value_kind:     by_value
      - .offset:         56
        .size:           8
        .value_kind:     by_value
      - .offset:         64
        .size:           4
        .value_kind:     by_value
      - .offset:         72
        .size:           8
        .value_kind:     by_value
      - .offset:         80
        .size:           8
        .value_kind:     by_value
      - .offset:         88
        .size:           4
        .value_kind:     hidden_block_count_x
      - .offset:         92
        .size:           4
        .value_kind:     hidden_block_count_y
      - .offset:         96
        .size:           4
        .value_kind:     hidden_block_count_z
      - .offset:         100
        .size:           2
        .value_kind:     hidden_group_size_x
      - .offset:         102
        .size:           2
        .value_kind:     hidden_group_size_y
      - .offset:         104
        .size:           2
        .value_kind:     hidden_group_size_z
      - .offset:         106
        .size:           2
        .value_kind:     hidden_remainder_x
      - .offset:         108
        .size:           2
        .value_kind:     hidden_remainder_y
      - .offset:         110
        .size:           2
        .value_kind:     hidden_remainder_z
      - .offset:         128
        .size:           8
        .value_kind:     hidden_global_offset_x
      - .offset:         136
        .size:           8
        .value_kind:     hidden_global_offset_y
      - .offset:         144
        .size:           8
        .value_kind:     hidden_global_offset_z
      - .offset:         152
        .size:           2
        .value_kind:     hidden_grid_dims
    .group_segment_fixed_size: 0
    .kernarg_segment_align: 8
    .kernarg_segment_size: 344
    .language:       OpenCL C
    .language_version:
      - 2
      - 0
    .max_flat_workgroup_size: 1024
    .name:           _ZN2at6native12_GLOBAL__N_131pdist_backward_kernel_cuda_implIfNS1_5distsIfE6lt_twoEEEvPT_PKS6_S9_S9_llllS6_dd
    .private_segment_fixed_size: 0
    .sgpr_count:     26
    .sgpr_spill_count: 0
    .symbol:         _ZN2at6native12_GLOBAL__N_131pdist_backward_kernel_cuda_implIfNS1_5distsIfE6lt_twoEEEvPT_PKS6_S9_S9_llllS6_dd.kd
    .uniform_work_group_size: 1
    .uses_dynamic_stack: false
    .vgpr_count:     30
    .vgpr_spill_count: 0
    .wavefront_size: 32
    .workgroup_processor_mode: 1
  - .args:
      - .address_space:  global
        .offset:         0
        .size:           8
        .value_kind:     global_buffer
      - .address_space:  global
        .offset:         8
        .size:           8
        .value_kind:     global_buffer
      - .address_space:  global
        .offset:         16
        .size:           8
        .value_kind:     global_buffer
      - .address_space:  global
        .offset:         24
        .size:           8
        .value_kind:     global_buffer
      - .offset:         32
        .size:           8
        .value_kind:     by_value
      - .offset:         40
        .size:           8
        .value_kind:     by_value
      - .offset:         48
        .size:           8
        .value_kind:     by_value
      - .offset:         56
        .size:           8
        .value_kind:     by_value
      - .offset:         64
        .size:           4
        .value_kind:     by_value
      - .offset:         72
        .size:           8
        .value_kind:     by_value
      - .offset:         80
        .size:           8
        .value_kind:     by_value
      - .offset:         88
        .size:           4
        .value_kind:     hidden_block_count_x
      - .offset:         92
        .size:           4
        .value_kind:     hidden_block_count_y
      - .offset:         96
        .size:           4
        .value_kind:     hidden_block_count_z
      - .offset:         100
        .size:           2
        .value_kind:     hidden_group_size_x
      - .offset:         102
        .size:           2
        .value_kind:     hidden_group_size_y
      - .offset:         104
        .size:           2
        .value_kind:     hidden_group_size_z
      - .offset:         106
        .size:           2
        .value_kind:     hidden_remainder_x
      - .offset:         108
        .size:           2
        .value_kind:     hidden_remainder_y
      - .offset:         110
        .size:           2
        .value_kind:     hidden_remainder_z
      - .offset:         128
        .size:           8
        .value_kind:     hidden_global_offset_x
      - .offset:         136
        .size:           8
        .value_kind:     hidden_global_offset_y
      - .offset:         144
        .size:           8
        .value_kind:     hidden_global_offset_z
      - .offset:         152
        .size:           2
        .value_kind:     hidden_grid_dims
    .group_segment_fixed_size: 0
    .kernarg_segment_align: 8
    .kernarg_segment_size: 344
    .language:       OpenCL C
    .language_version:
      - 2
      - 0
    .max_flat_workgroup_size: 1024
    .name:           _ZN2at6native12_GLOBAL__N_131pdist_backward_kernel_cuda_implIfNS1_5distsIfE3twoEEEvPT_PKS6_S9_S9_llllS6_dd
    .private_segment_fixed_size: 0
    .sgpr_count:     26
    .sgpr_spill_count: 0
    .symbol:         _ZN2at6native12_GLOBAL__N_131pdist_backward_kernel_cuda_implIfNS1_5distsIfE3twoEEEvPT_PKS6_S9_S9_llllS6_dd.kd
    .uniform_work_group_size: 1
    .uses_dynamic_stack: false
    .vgpr_count:     24
    .vgpr_spill_count: 0
    .wavefront_size: 32
    .workgroup_processor_mode: 1
  - .args:
      - .address_space:  global
        .offset:         0
        .size:           8
        .value_kind:     global_buffer
      - .address_space:  global
        .offset:         8
        .size:           8
        .value_kind:     global_buffer
      - .address_space:  global
        .offset:         16
        .size:           8
        .value_kind:     global_buffer
      - .address_space:  global
        .offset:         24
        .size:           8
        .value_kind:     global_buffer
      - .offset:         32
        .size:           8
        .value_kind:     by_value
      - .offset:         40
        .size:           8
        .value_kind:     by_value
      - .offset:         48
        .size:           8
        .value_kind:     by_value
      - .offset:         56
        .size:           8
        .value_kind:     by_value
      - .offset:         64
        .size:           4
        .value_kind:     by_value
      - .offset:         72
        .size:           8
        .value_kind:     by_value
      - .offset:         80
        .size:           8
        .value_kind:     by_value
      - .offset:         88
        .size:           4
        .value_kind:     hidden_block_count_x
      - .offset:         92
        .size:           4
        .value_kind:     hidden_block_count_y
      - .offset:         96
        .size:           4
        .value_kind:     hidden_block_count_z
      - .offset:         100
        .size:           2
        .value_kind:     hidden_group_size_x
      - .offset:         102
        .size:           2
        .value_kind:     hidden_group_size_y
      - .offset:         104
        .size:           2
        .value_kind:     hidden_group_size_z
      - .offset:         106
        .size:           2
        .value_kind:     hidden_remainder_x
      - .offset:         108
        .size:           2
        .value_kind:     hidden_remainder_y
      - .offset:         110
        .size:           2
        .value_kind:     hidden_remainder_z
      - .offset:         128
        .size:           8
        .value_kind:     hidden_global_offset_x
      - .offset:         136
        .size:           8
        .value_kind:     hidden_global_offset_y
      - .offset:         144
        .size:           8
        .value_kind:     hidden_global_offset_z
      - .offset:         152
        .size:           2
        .value_kind:     hidden_grid_dims
    .group_segment_fixed_size: 0
    .kernarg_segment_align: 8
    .kernarg_segment_size: 344
    .language:       OpenCL C
    .language_version:
      - 2
      - 0
    .max_flat_workgroup_size: 1024
    .name:           _ZN2at6native12_GLOBAL__N_131pdist_backward_kernel_cuda_implIfNS1_5distsIfE3infEEEvPT_PKS6_S9_S9_llllS6_dd
    .private_segment_fixed_size: 0
    .sgpr_count:     26
    .sgpr_spill_count: 0
    .symbol:         _ZN2at6native12_GLOBAL__N_131pdist_backward_kernel_cuda_implIfNS1_5distsIfE3infEEEvPT_PKS6_S9_S9_llllS6_dd.kd
    .uniform_work_group_size: 1
    .uses_dynamic_stack: false
    .vgpr_count:     23
    .vgpr_spill_count: 0
    .wavefront_size: 32
    .workgroup_processor_mode: 1
  - .args:
      - .address_space:  global
        .offset:         0
        .size:           8
        .value_kind:     global_buffer
      - .address_space:  global
        .offset:         8
        .size:           8
        .value_kind:     global_buffer
      - .address_space:  global
        .offset:         16
        .size:           8
        .value_kind:     global_buffer
      - .address_space:  global
        .offset:         24
        .size:           8
        .value_kind:     global_buffer
      - .address_space:  global
        .offset:         32
        .size:           8
        .value_kind:     global_buffer
      - .offset:         40
        .size:           8
        .value_kind:     by_value
      - .offset:         48
        .size:           8
        .value_kind:     by_value
      - .offset:         56
        .size:           8
        .value_kind:     by_value
      - .offset:         64
        .size:           8
        .value_kind:     by_value
      - .offset:         72
        .size:           8
        .value_kind:     by_value
      - .offset:         80
        .size:           8
        .value_kind:     by_value
      - .offset:         88
        .size:           8
        .value_kind:     by_value
      - .offset:         96
        .size:           8
        .value_kind:     by_value
      - .offset:         104
        .size:           4
        .value_kind:     hidden_block_count_x
      - .offset:         108
        .size:           4
        .value_kind:     hidden_block_count_y
      - .offset:         112
        .size:           4
        .value_kind:     hidden_block_count_z
      - .offset:         116
        .size:           2
        .value_kind:     hidden_group_size_x
      - .offset:         118
        .size:           2
        .value_kind:     hidden_group_size_y
      - .offset:         120
        .size:           2
        .value_kind:     hidden_group_size_z
      - .offset:         122
        .size:           2
        .value_kind:     hidden_remainder_x
      - .offset:         124
        .size:           2
        .value_kind:     hidden_remainder_y
      - .offset:         126
        .size:           2
        .value_kind:     hidden_remainder_z
      - .offset:         144
        .size:           8
        .value_kind:     hidden_global_offset_x
      - .offset:         152
        .size:           8
        .value_kind:     hidden_global_offset_y
      - .offset:         160
        .size:           8
        .value_kind:     hidden_global_offset_z
      - .offset:         168
        .size:           2
        .value_kind:     hidden_grid_dims
    .group_segment_fixed_size: 0
    .kernarg_segment_align: 8
    .kernarg_segment_size: 360
    .language:       OpenCL C
    .language_version:
      - 2
      - 0
    .max_flat_workgroup_size: 1024
    .name:           _ZN2at6native12_GLOBAL__N_131cdist_backward_kernel_cuda_implIdNS1_5distsIdE1pEEEvPT_PKS6_S9_S9_S9_S6_lllllll
    .private_segment_fixed_size: 0
    .sgpr_count:     81
    .sgpr_spill_count: 0
    .symbol:         _ZN2at6native12_GLOBAL__N_131cdist_backward_kernel_cuda_implIdNS1_5distsIdE1pEEEvPT_PKS6_S9_S9_S9_S6_lllllll.kd
    .uniform_work_group_size: 1
    .uses_dynamic_stack: false
    .vgpr_count:     44
    .vgpr_spill_count: 0
    .wavefront_size: 32
    .workgroup_processor_mode: 1
  - .args:
      - .address_space:  global
        .offset:         0
        .size:           8
        .value_kind:     global_buffer
      - .address_space:  global
        .offset:         8
        .size:           8
        .value_kind:     global_buffer
      - .address_space:  global
        .offset:         16
        .size:           8
        .value_kind:     global_buffer
      - .address_space:  global
        .offset:         24
        .size:           8
        .value_kind:     global_buffer
      - .address_space:  global
        .offset:         32
        .size:           8
        .value_kind:     global_buffer
      - .offset:         40
        .size:           8
        .value_kind:     by_value
      - .offset:         48
        .size:           8
        .value_kind:     by_value
      - .offset:         56
        .size:           8
        .value_kind:     by_value
      - .offset:         64
        .size:           8
        .value_kind:     by_value
      - .offset:         72
        .size:           8
        .value_kind:     by_value
      - .offset:         80
        .size:           8
        .value_kind:     by_value
      - .offset:         88
        .size:           8
        .value_kind:     by_value
      - .offset:         96
        .size:           8
        .value_kind:     by_value
      - .offset:         104
        .size:           4
        .value_kind:     hidden_block_count_x
      - .offset:         108
        .size:           4
        .value_kind:     hidden_block_count_y
      - .offset:         112
        .size:           4
        .value_kind:     hidden_block_count_z
      - .offset:         116
        .size:           2
        .value_kind:     hidden_group_size_x
      - .offset:         118
        .size:           2
        .value_kind:     hidden_group_size_y
      - .offset:         120
        .size:           2
        .value_kind:     hidden_group_size_z
      - .offset:         122
        .size:           2
        .value_kind:     hidden_remainder_x
      - .offset:         124
        .size:           2
        .value_kind:     hidden_remainder_y
      - .offset:         126
        .size:           2
        .value_kind:     hidden_remainder_z
      - .offset:         144
        .size:           8
        .value_kind:     hidden_global_offset_x
      - .offset:         152
        .size:           8
        .value_kind:     hidden_global_offset_y
      - .offset:         160
        .size:           8
        .value_kind:     hidden_global_offset_z
      - .offset:         168
        .size:           2
        .value_kind:     hidden_grid_dims
    .group_segment_fixed_size: 0
    .kernarg_segment_align: 8
    .kernarg_segment_size: 360
    .language:       OpenCL C
    .language_version:
      - 2
      - 0
    .max_flat_workgroup_size: 1024
    .name:           _ZN2at6native12_GLOBAL__N_131cdist_backward_kernel_cuda_implIdNS1_5distsIdE3oneEEEvPT_PKS6_S9_S9_S9_S6_lllllll
    .private_segment_fixed_size: 0
    .sgpr_count:     34
    .sgpr_spill_count: 0
    .symbol:         _ZN2at6native12_GLOBAL__N_131cdist_backward_kernel_cuda_implIdNS1_5distsIdE3oneEEEvPT_PKS6_S9_S9_S9_S6_lllllll.kd
    .uniform_work_group_size: 1
    .uses_dynamic_stack: false
    .vgpr_count:     23
    .vgpr_spill_count: 0
    .wavefront_size: 32
    .workgroup_processor_mode: 1
  - .args:
      - .address_space:  global
        .offset:         0
        .size:           8
        .value_kind:     global_buffer
      - .address_space:  global
        .offset:         8
        .size:           8
        .value_kind:     global_buffer
      - .address_space:  global
        .offset:         16
        .size:           8
        .value_kind:     global_buffer
      - .address_space:  global
        .offset:         24
        .size:           8
        .value_kind:     global_buffer
      - .address_space:  global
        .offset:         32
        .size:           8
        .value_kind:     global_buffer
      - .offset:         40
        .size:           8
        .value_kind:     by_value
      - .offset:         48
        .size:           8
        .value_kind:     by_value
      - .offset:         56
        .size:           8
        .value_kind:     by_value
      - .offset:         64
        .size:           8
        .value_kind:     by_value
      - .offset:         72
        .size:           8
        .value_kind:     by_value
      - .offset:         80
        .size:           8
        .value_kind:     by_value
      - .offset:         88
        .size:           8
        .value_kind:     by_value
      - .offset:         96
        .size:           8
        .value_kind:     by_value
      - .offset:         104
        .size:           4
        .value_kind:     hidden_block_count_x
      - .offset:         108
        .size:           4
        .value_kind:     hidden_block_count_y
      - .offset:         112
        .size:           4
        .value_kind:     hidden_block_count_z
      - .offset:         116
        .size:           2
        .value_kind:     hidden_group_size_x
      - .offset:         118
        .size:           2
        .value_kind:     hidden_group_size_y
      - .offset:         120
        .size:           2
        .value_kind:     hidden_group_size_z
      - .offset:         122
        .size:           2
        .value_kind:     hidden_remainder_x
      - .offset:         124
        .size:           2
        .value_kind:     hidden_remainder_y
      - .offset:         126
        .size:           2
        .value_kind:     hidden_remainder_z
      - .offset:         144
        .size:           8
        .value_kind:     hidden_global_offset_x
      - .offset:         152
        .size:           8
        .value_kind:     hidden_global_offset_y
      - .offset:         160
        .size:           8
        .value_kind:     hidden_global_offset_z
      - .offset:         168
        .size:           2
        .value_kind:     hidden_grid_dims
    .group_segment_fixed_size: 0
    .kernarg_segment_align: 8
    .kernarg_segment_size: 360
    .language:       OpenCL C
    .language_version:
      - 2
      - 0
    .max_flat_workgroup_size: 1024
    .name:           _ZN2at6native12_GLOBAL__N_131cdist_backward_kernel_cuda_implIdNS1_5distsIdE6lt_twoEEEvPT_PKS6_S9_S9_S9_S6_lllllll
    .private_segment_fixed_size: 0
    .sgpr_count:     82
    .sgpr_spill_count: 0
    .symbol:         _ZN2at6native12_GLOBAL__N_131cdist_backward_kernel_cuda_implIdNS1_5distsIdE6lt_twoEEEvPT_PKS6_S9_S9_S9_S6_lllllll.kd
    .uniform_work_group_size: 1
    .uses_dynamic_stack: false
    .vgpr_count:     44
    .vgpr_spill_count: 0
    .wavefront_size: 32
    .workgroup_processor_mode: 1
  - .args:
      - .address_space:  global
        .offset:         0
        .size:           8
        .value_kind:     global_buffer
      - .address_space:  global
        .offset:         8
        .size:           8
        .value_kind:     global_buffer
      - .address_space:  global
        .offset:         16
        .size:           8
        .value_kind:     global_buffer
      - .address_space:  global
        .offset:         24
        .size:           8
        .value_kind:     global_buffer
      - .address_space:  global
        .offset:         32
        .size:           8
        .value_kind:     global_buffer
      - .offset:         40
        .size:           8
        .value_kind:     by_value
      - .offset:         48
        .size:           8
        .value_kind:     by_value
      - .offset:         56
        .size:           8
        .value_kind:     by_value
      - .offset:         64
        .size:           8
        .value_kind:     by_value
      - .offset:         72
        .size:           8
        .value_kind:     by_value
      - .offset:         80
        .size:           8
        .value_kind:     by_value
      - .offset:         88
        .size:           8
        .value_kind:     by_value
      - .offset:         96
        .size:           8
        .value_kind:     by_value
      - .offset:         104
        .size:           4
        .value_kind:     hidden_block_count_x
      - .offset:         108
        .size:           4
        .value_kind:     hidden_block_count_y
      - .offset:         112
        .size:           4
        .value_kind:     hidden_block_count_z
      - .offset:         116
        .size:           2
        .value_kind:     hidden_group_size_x
      - .offset:         118
        .size:           2
        .value_kind:     hidden_group_size_y
      - .offset:         120
        .size:           2
        .value_kind:     hidden_group_size_z
      - .offset:         122
        .size:           2
        .value_kind:     hidden_remainder_x
      - .offset:         124
        .size:           2
        .value_kind:     hidden_remainder_y
      - .offset:         126
        .size:           2
        .value_kind:     hidden_remainder_z
      - .offset:         144
        .size:           8
        .value_kind:     hidden_global_offset_x
      - .offset:         152
        .size:           8
        .value_kind:     hidden_global_offset_y
      - .offset:         160
        .size:           8
        .value_kind:     hidden_global_offset_z
      - .offset:         168
        .size:           2
        .value_kind:     hidden_grid_dims
    .group_segment_fixed_size: 0
    .kernarg_segment_align: 8
    .kernarg_segment_size: 360
    .language:       OpenCL C
    .language_version:
      - 2
      - 0
    .max_flat_workgroup_size: 1024
    .name:           _ZN2at6native12_GLOBAL__N_131cdist_backward_kernel_cuda_implIdNS1_5distsIdE3twoEEEvPT_PKS6_S9_S9_S9_S6_lllllll
    .private_segment_fixed_size: 0
    .sgpr_count:     34
    .sgpr_spill_count: 0
    .symbol:         _ZN2at6native12_GLOBAL__N_131cdist_backward_kernel_cuda_implIdNS1_5distsIdE3twoEEEvPT_PKS6_S9_S9_S9_S6_lllllll.kd
    .uniform_work_group_size: 1
    .uses_dynamic_stack: false
    .vgpr_count:     26
    .vgpr_spill_count: 0
    .wavefront_size: 32
    .workgroup_processor_mode: 1
  - .args:
      - .address_space:  global
        .offset:         0
        .size:           8
        .value_kind:     global_buffer
      - .address_space:  global
        .offset:         8
        .size:           8
        .value_kind:     global_buffer
      - .address_space:  global
        .offset:         16
        .size:           8
        .value_kind:     global_buffer
      - .address_space:  global
        .offset:         24
        .size:           8
        .value_kind:     global_buffer
      - .address_space:  global
        .offset:         32
        .size:           8
        .value_kind:     global_buffer
      - .offset:         40
        .size:           8
        .value_kind:     by_value
      - .offset:         48
        .size:           8
        .value_kind:     by_value
      - .offset:         56
        .size:           8
        .value_kind:     by_value
      - .offset:         64
        .size:           8
        .value_kind:     by_value
      - .offset:         72
        .size:           8
        .value_kind:     by_value
      - .offset:         80
        .size:           8
        .value_kind:     by_value
      - .offset:         88
        .size:           8
        .value_kind:     by_value
      - .offset:         96
        .size:           8
        .value_kind:     by_value
      - .offset:         104
        .size:           4
        .value_kind:     hidden_block_count_x
      - .offset:         108
        .size:           4
        .value_kind:     hidden_block_count_y
      - .offset:         112
        .size:           4
        .value_kind:     hidden_block_count_z
      - .offset:         116
        .size:           2
        .value_kind:     hidden_group_size_x
      - .offset:         118
        .size:           2
        .value_kind:     hidden_group_size_y
      - .offset:         120
        .size:           2
        .value_kind:     hidden_group_size_z
      - .offset:         122
        .size:           2
        .value_kind:     hidden_remainder_x
      - .offset:         124
        .size:           2
        .value_kind:     hidden_remainder_y
      - .offset:         126
        .size:           2
        .value_kind:     hidden_remainder_z
      - .offset:         144
        .size:           8
        .value_kind:     hidden_global_offset_x
      - .offset:         152
        .size:           8
        .value_kind:     hidden_global_offset_y
      - .offset:         160
        .size:           8
        .value_kind:     hidden_global_offset_z
      - .offset:         168
        .size:           2
        .value_kind:     hidden_grid_dims
    .group_segment_fixed_size: 0
    .kernarg_segment_align: 8
    .kernarg_segment_size: 360
    .language:       OpenCL C
    .language_version:
      - 2
      - 0
    .max_flat_workgroup_size: 1024
    .name:           _ZN2at6native12_GLOBAL__N_131cdist_backward_kernel_cuda_implIdNS1_5distsIdE3infEEEvPT_PKS6_S9_S9_S9_S6_lllllll
    .private_segment_fixed_size: 0
    .sgpr_count:     34
    .sgpr_spill_count: 0
    .symbol:         _ZN2at6native12_GLOBAL__N_131cdist_backward_kernel_cuda_implIdNS1_5distsIdE3infEEEvPT_PKS6_S9_S9_S9_S6_lllllll.kd
    .uniform_work_group_size: 1
    .uses_dynamic_stack: false
    .vgpr_count:     26
    .vgpr_spill_count: 0
    .wavefront_size: 32
    .workgroup_processor_mode: 1
  - .args:
      - .address_space:  global
        .offset:         0
        .size:           8
        .value_kind:     global_buffer
      - .address_space:  global
        .offset:         8
        .size:           8
        .value_kind:     global_buffer
      - .address_space:  global
        .offset:         16
        .size:           8
        .value_kind:     global_buffer
      - .address_space:  global
        .offset:         24
        .size:           8
        .value_kind:     global_buffer
      - .address_space:  global
        .offset:         32
        .size:           8
        .value_kind:     global_buffer
      - .offset:         40
        .size:           4
        .value_kind:     by_value
      - .offset:         48
        .size:           8
        .value_kind:     by_value
      - .offset:         56
        .size:           8
        .value_kind:     by_value
      - .offset:         64
        .size:           8
        .value_kind:     by_value
      - .offset:         72
        .size:           8
        .value_kind:     by_value
      - .offset:         80
        .size:           8
        .value_kind:     by_value
      - .offset:         88
        .size:           8
        .value_kind:     by_value
      - .offset:         96
        .size:           8
        .value_kind:     by_value
      - .offset:         104
        .size:           4
        .value_kind:     hidden_block_count_x
      - .offset:         108
        .size:           4
        .value_kind:     hidden_block_count_y
      - .offset:         112
        .size:           4
        .value_kind:     hidden_block_count_z
      - .offset:         116
        .size:           2
        .value_kind:     hidden_group_size_x
      - .offset:         118
        .size:           2
        .value_kind:     hidden_group_size_y
      - .offset:         120
        .size:           2
        .value_kind:     hidden_group_size_z
      - .offset:         122
        .size:           2
        .value_kind:     hidden_remainder_x
      - .offset:         124
        .size:           2
        .value_kind:     hidden_remainder_y
      - .offset:         126
        .size:           2
        .value_kind:     hidden_remainder_z
      - .offset:         144
        .size:           8
        .value_kind:     hidden_global_offset_x
      - .offset:         152
        .size:           8
        .value_kind:     hidden_global_offset_y
      - .offset:         160
        .size:           8
        .value_kind:     hidden_global_offset_z
      - .offset:         168
        .size:           2
        .value_kind:     hidden_grid_dims
    .group_segment_fixed_size: 0
    .kernarg_segment_align: 8
    .kernarg_segment_size: 360
    .language:       OpenCL C
    .language_version:
      - 2
      - 0
    .max_flat_workgroup_size: 1024
    .name:           _ZN2at6native12_GLOBAL__N_131cdist_backward_kernel_cuda_implIfNS1_5distsIfE1pEEEvPT_PKS6_S9_S9_S9_S6_lllllll
    .private_segment_fixed_size: 0
    .sgpr_count:     34
    .sgpr_spill_count: 0
    .symbol:         _ZN2at6native12_GLOBAL__N_131cdist_backward_kernel_cuda_implIfNS1_5distsIfE1pEEEvPT_PKS6_S9_S9_S9_S6_lllllll.kd
    .uniform_work_group_size: 1
    .uses_dynamic_stack: false
    .vgpr_count:     35
    .vgpr_spill_count: 0
    .wavefront_size: 32
    .workgroup_processor_mode: 1
  - .args:
      - .address_space:  global
        .offset:         0
        .size:           8
        .value_kind:     global_buffer
      - .address_space:  global
        .offset:         8
        .size:           8
        .value_kind:     global_buffer
      - .address_space:  global
        .offset:         16
        .size:           8
        .value_kind:     global_buffer
      - .address_space:  global
        .offset:         24
        .size:           8
        .value_kind:     global_buffer
      - .address_space:  global
        .offset:         32
        .size:           8
        .value_kind:     global_buffer
      - .offset:         40
        .size:           4
        .value_kind:     by_value
      - .offset:         48
        .size:           8
        .value_kind:     by_value
      - .offset:         56
        .size:           8
        .value_kind:     by_value
      - .offset:         64
        .size:           8
        .value_kind:     by_value
      - .offset:         72
        .size:           8
        .value_kind:     by_value
      - .offset:         80
        .size:           8
        .value_kind:     by_value
      - .offset:         88
        .size:           8
        .value_kind:     by_value
      - .offset:         96
        .size:           8
        .value_kind:     by_value
      - .offset:         104
        .size:           4
        .value_kind:     hidden_block_count_x
      - .offset:         108
        .size:           4
        .value_kind:     hidden_block_count_y
      - .offset:         112
        .size:           4
        .value_kind:     hidden_block_count_z
      - .offset:         116
        .size:           2
        .value_kind:     hidden_group_size_x
      - .offset:         118
        .size:           2
        .value_kind:     hidden_group_size_y
      - .offset:         120
        .size:           2
        .value_kind:     hidden_group_size_z
      - .offset:         122
        .size:           2
        .value_kind:     hidden_remainder_x
      - .offset:         124
        .size:           2
        .value_kind:     hidden_remainder_y
      - .offset:         126
        .size:           2
        .value_kind:     hidden_remainder_z
      - .offset:         144
        .size:           8
        .value_kind:     hidden_global_offset_x
      - .offset:         152
        .size:           8
        .value_kind:     hidden_global_offset_y
      - .offset:         160
        .size:           8
        .value_kind:     hidden_global_offset_z
      - .offset:         168
        .size:           2
        .value_kind:     hidden_grid_dims
    .group_segment_fixed_size: 0
    .kernarg_segment_align: 8
    .kernarg_segment_size: 360
    .language:       OpenCL C
    .language_version:
      - 2
      - 0
    .max_flat_workgroup_size: 1024
    .name:           _ZN2at6native12_GLOBAL__N_131cdist_backward_kernel_cuda_implIfNS1_5distsIfE3oneEEEvPT_PKS6_S9_S9_S9_S6_lllllll
    .private_segment_fixed_size: 0
    .sgpr_count:     34
    .sgpr_spill_count: 0
    .symbol:         _ZN2at6native12_GLOBAL__N_131cdist_backward_kernel_cuda_implIfNS1_5distsIfE3oneEEEvPT_PKS6_S9_S9_S9_S6_lllllll.kd
    .uniform_work_group_size: 1
    .uses_dynamic_stack: false
    .vgpr_count:     22
    .vgpr_spill_count: 0
    .wavefront_size: 32
    .workgroup_processor_mode: 1
  - .args:
      - .address_space:  global
        .offset:         0
        .size:           8
        .value_kind:     global_buffer
      - .address_space:  global
        .offset:         8
        .size:           8
        .value_kind:     global_buffer
      - .address_space:  global
        .offset:         16
        .size:           8
        .value_kind:     global_buffer
      - .address_space:  global
        .offset:         24
        .size:           8
        .value_kind:     global_buffer
      - .address_space:  global
        .offset:         32
        .size:           8
        .value_kind:     global_buffer
      - .offset:         40
        .size:           4
        .value_kind:     by_value
      - .offset:         48
        .size:           8
        .value_kind:     by_value
      - .offset:         56
        .size:           8
        .value_kind:     by_value
      - .offset:         64
        .size:           8
        .value_kind:     by_value
      - .offset:         72
        .size:           8
        .value_kind:     by_value
      - .offset:         80
        .size:           8
        .value_kind:     by_value
      - .offset:         88
        .size:           8
        .value_kind:     by_value
      - .offset:         96
        .size:           8
        .value_kind:     by_value
      - .offset:         104
        .size:           4
        .value_kind:     hidden_block_count_x
      - .offset:         108
        .size:           4
        .value_kind:     hidden_block_count_y
      - .offset:         112
        .size:           4
        .value_kind:     hidden_block_count_z
      - .offset:         116
        .size:           2
        .value_kind:     hidden_group_size_x
      - .offset:         118
        .size:           2
        .value_kind:     hidden_group_size_y
      - .offset:         120
        .size:           2
        .value_kind:     hidden_group_size_z
      - .offset:         122
        .size:           2
        .value_kind:     hidden_remainder_x
      - .offset:         124
        .size:           2
        .value_kind:     hidden_remainder_y
      - .offset:         126
        .size:           2
        .value_kind:     hidden_remainder_z
      - .offset:         144
        .size:           8
        .value_kind:     hidden_global_offset_x
      - .offset:         152
        .size:           8
        .value_kind:     hidden_global_offset_y
      - .offset:         160
        .size:           8
        .value_kind:     hidden_global_offset_z
      - .offset:         168
        .size:           2
        .value_kind:     hidden_grid_dims
    .group_segment_fixed_size: 0
    .kernarg_segment_align: 8
    .kernarg_segment_size: 360
    .language:       OpenCL C
    .language_version:
      - 2
      - 0
    .max_flat_workgroup_size: 1024
    .name:           _ZN2at6native12_GLOBAL__N_131cdist_backward_kernel_cuda_implIfNS1_5distsIfE6lt_twoEEEvPT_PKS6_S9_S9_S9_S6_lllllll
    .private_segment_fixed_size: 0
    .sgpr_count:     34
    .sgpr_spill_count: 0
    .symbol:         _ZN2at6native12_GLOBAL__N_131cdist_backward_kernel_cuda_implIfNS1_5distsIfE6lt_twoEEEvPT_PKS6_S9_S9_S9_S6_lllllll.kd
    .uniform_work_group_size: 1
    .uses_dynamic_stack: false
    .vgpr_count:     35
    .vgpr_spill_count: 0
    .wavefront_size: 32
    .workgroup_processor_mode: 1
  - .args:
      - .address_space:  global
        .offset:         0
        .size:           8
        .value_kind:     global_buffer
      - .address_space:  global
        .offset:         8
        .size:           8
        .value_kind:     global_buffer
      - .address_space:  global
        .offset:         16
        .size:           8
        .value_kind:     global_buffer
      - .address_space:  global
        .offset:         24
        .size:           8
        .value_kind:     global_buffer
      - .address_space:  global
        .offset:         32
        .size:           8
        .value_kind:     global_buffer
      - .offset:         40
        .size:           4
        .value_kind:     by_value
      - .offset:         48
        .size:           8
        .value_kind:     by_value
      - .offset:         56
        .size:           8
        .value_kind:     by_value
      - .offset:         64
        .size:           8
        .value_kind:     by_value
      - .offset:         72
        .size:           8
        .value_kind:     by_value
      - .offset:         80
        .size:           8
        .value_kind:     by_value
      - .offset:         88
        .size:           8
        .value_kind:     by_value
      - .offset:         96
        .size:           8
        .value_kind:     by_value
      - .offset:         104
        .size:           4
        .value_kind:     hidden_block_count_x
      - .offset:         108
        .size:           4
        .value_kind:     hidden_block_count_y
      - .offset:         112
        .size:           4
        .value_kind:     hidden_block_count_z
      - .offset:         116
        .size:           2
        .value_kind:     hidden_group_size_x
      - .offset:         118
        .size:           2
        .value_kind:     hidden_group_size_y
      - .offset:         120
        .size:           2
        .value_kind:     hidden_group_size_z
      - .offset:         122
        .size:           2
        .value_kind:     hidden_remainder_x
      - .offset:         124
        .size:           2
        .value_kind:     hidden_remainder_y
      - .offset:         126
        .size:           2
        .value_kind:     hidden_remainder_z
      - .offset:         144
        .size:           8
        .value_kind:     hidden_global_offset_x
      - .offset:         152
        .size:           8
        .value_kind:     hidden_global_offset_y
      - .offset:         160
        .size:           8
        .value_kind:     hidden_global_offset_z
      - .offset:         168
        .size:           2
        .value_kind:     hidden_grid_dims
    .group_segment_fixed_size: 0
    .kernarg_segment_align: 8
    .kernarg_segment_size: 360
    .language:       OpenCL C
    .language_version:
      - 2
      - 0
    .max_flat_workgroup_size: 1024
    .name:           _ZN2at6native12_GLOBAL__N_131cdist_backward_kernel_cuda_implIfNS1_5distsIfE3twoEEEvPT_PKS6_S9_S9_S9_S6_lllllll
    .private_segment_fixed_size: 0
    .sgpr_count:     34
    .sgpr_spill_count: 0
    .symbol:         _ZN2at6native12_GLOBAL__N_131cdist_backward_kernel_cuda_implIfNS1_5distsIfE3twoEEEvPT_PKS6_S9_S9_S9_S6_lllllll.kd
    .uniform_work_group_size: 1
    .uses_dynamic_stack: false
    .vgpr_count:     23
    .vgpr_spill_count: 0
    .wavefront_size: 32
    .workgroup_processor_mode: 1
  - .args:
      - .address_space:  global
        .offset:         0
        .size:           8
        .value_kind:     global_buffer
      - .address_space:  global
        .offset:         8
        .size:           8
        .value_kind:     global_buffer
      - .address_space:  global
        .offset:         16
        .size:           8
        .value_kind:     global_buffer
      - .address_space:  global
        .offset:         24
        .size:           8
        .value_kind:     global_buffer
      - .address_space:  global
        .offset:         32
        .size:           8
        .value_kind:     global_buffer
      - .offset:         40
        .size:           4
        .value_kind:     by_value
      - .offset:         48
        .size:           8
        .value_kind:     by_value
      - .offset:         56
        .size:           8
        .value_kind:     by_value
      - .offset:         64
        .size:           8
        .value_kind:     by_value
      - .offset:         72
        .size:           8
        .value_kind:     by_value
      - .offset:         80
        .size:           8
        .value_kind:     by_value
      - .offset:         88
        .size:           8
        .value_kind:     by_value
      - .offset:         96
        .size:           8
        .value_kind:     by_value
      - .offset:         104
        .size:           4
        .value_kind:     hidden_block_count_x
      - .offset:         108
        .size:           4
        .value_kind:     hidden_block_count_y
      - .offset:         112
        .size:           4
        .value_kind:     hidden_block_count_z
      - .offset:         116
        .size:           2
        .value_kind:     hidden_group_size_x
      - .offset:         118
        .size:           2
        .value_kind:     hidden_group_size_y
      - .offset:         120
        .size:           2
        .value_kind:     hidden_group_size_z
      - .offset:         122
        .size:           2
        .value_kind:     hidden_remainder_x
      - .offset:         124
        .size:           2
        .value_kind:     hidden_remainder_y
      - .offset:         126
        .size:           2
        .value_kind:     hidden_remainder_z
      - .offset:         144
        .size:           8
        .value_kind:     hidden_global_offset_x
      - .offset:         152
        .size:           8
        .value_kind:     hidden_global_offset_y
      - .offset:         160
        .size:           8
        .value_kind:     hidden_global_offset_z
      - .offset:         168
        .size:           2
        .value_kind:     hidden_grid_dims
    .group_segment_fixed_size: 0
    .kernarg_segment_align: 8
    .kernarg_segment_size: 360
    .language:       OpenCL C
    .language_version:
      - 2
      - 0
    .max_flat_workgroup_size: 1024
    .name:           _ZN2at6native12_GLOBAL__N_131cdist_backward_kernel_cuda_implIfNS1_5distsIfE3infEEEvPT_PKS6_S9_S9_S9_S6_lllllll
    .private_segment_fixed_size: 0
    .sgpr_count:     34
    .sgpr_spill_count: 0
    .symbol:         _ZN2at6native12_GLOBAL__N_131cdist_backward_kernel_cuda_implIfNS1_5distsIfE3infEEEvPT_PKS6_S9_S9_S9_S6_lllllll.kd
    .uniform_work_group_size: 1
    .uses_dynamic_stack: false
    .vgpr_count:     23
    .vgpr_spill_count: 0
    .wavefront_size: 32
    .workgroup_processor_mode: 1
amdhsa.target:   amdgcn-amd-amdhsa--gfx1201
amdhsa.version:
  - 1
  - 2
...

	.end_amdgpu_metadata
